;; amdgpu-corpus repo=ROCm/rocFFT kind=compiled arch=gfx906 opt=O3
	.text
	.amdgcn_target "amdgcn-amd-amdhsa--gfx906"
	.amdhsa_code_object_version 6
	.protected	bluestein_single_back_len864_dim1_dp_op_CI_CI ; -- Begin function bluestein_single_back_len864_dim1_dp_op_CI_CI
	.globl	bluestein_single_back_len864_dim1_dp_op_CI_CI
	.p2align	8
	.type	bluestein_single_back_len864_dim1_dp_op_CI_CI,@function
bluestein_single_back_len864_dim1_dp_op_CI_CI: ; @bluestein_single_back_len864_dim1_dp_op_CI_CI
; %bb.0:
	s_load_dwordx4 s[12:15], s[4:5], 0x28
	s_mov_b64 s[30:31], s[2:3]
	v_mul_u32_u24_e32 v1, 0x4be, v0
	s_mov_b64 s[28:29], s[0:1]
	v_add_u32_sdwa v4, s6, v1 dst_sel:DWORD dst_unused:UNUSED_PAD src0_sel:DWORD src1_sel:WORD_1
	v_mov_b32_e32 v5, 0
	s_add_u32 s28, s28, s7
	s_waitcnt lgkmcnt(0)
	v_cmp_gt_u64_e32 vcc, s[12:13], v[4:5]
	s_addc_u32 s29, s29, 0
	s_and_saveexec_b64 s[0:1], vcc
	s_cbranch_execz .LBB0_31
; %bb.1:
	s_load_dwordx4 s[0:3], s[4:5], 0x18
	s_load_dwordx2 s[12:13], s[4:5], 0x0
	v_mov_b32_e32 v2, 54
	v_mul_lo_u16_sdwa v1, v1, v2 dst_sel:DWORD dst_unused:UNUSED_PAD src0_sel:WORD_1 src1_sel:DWORD
	v_sub_u16_e32 v100, v0, v1
	s_waitcnt lgkmcnt(0)
	s_load_dwordx4 s[8:11], s[0:1], 0x0
	v_mov_b32_e32 v5, v4
	buffer_store_dword v5, off, s[28:31], 0 offset:80 ; 4-byte Folded Spill
	s_nop 0
	buffer_store_dword v6, off, s[28:31], 0 offset:84 ; 4-byte Folded Spill
	v_or_b32_e32 v18, 0x240, v100
	v_lshlrev_b32_e32 v52, 4, v100
	s_waitcnt lgkmcnt(0)
	v_mad_u64_u32 v[0:1], s[0:1], s10, v4, 0
	v_mad_u64_u32 v[2:3], s[0:1], s8, v100, 0
	s_movk_i32 s6, 0x1000
	v_mad_u64_u32 v[4:5], s[0:1], s11, v4, v[1:2]
	v_mad_u64_u32 v[5:6], s[0:1], s9, v100, v[3:4]
	v_mov_b32_e32 v1, v4
	v_lshlrev_b64 v[0:1], 4, v[0:1]
	v_mov_b32_e32 v6, s15
	v_mov_b32_e32 v3, v5
	v_add_co_u32_e32 v14, vcc, s14, v0
	v_addc_co_u32_e32 v15, vcc, v6, v1, vcc
	v_lshlrev_b64 v[0:1], 4, v[2:3]
	s_mul_i32 s0, s9, 0x120
	s_mul_hi_u32 s1, s8, 0x120
	v_add_co_u32_e32 v0, vcc, v14, v0
	s_add_i32 s1, s1, s0
	s_mul_i32 s0, s8, 0x120
	v_addc_co_u32_e32 v1, vcc, v15, v1, vcc
	s_lshl_b64 s[14:15], s[0:1], 4
	v_mad_u64_u32 v[4:5], s[0:1], s8, v18, 0
	v_mov_b32_e32 v2, s13
	v_add_co_u32_e32 v54, vcc, s12, v52
	v_addc_co_u32_e32 v55, vcc, 0, v2, vcc
	v_mov_b32_e32 v53, s15
	v_add_co_u32_e32 v2, vcc, s14, v0
	v_addc_co_u32_e32 v3, vcc, v1, v53, vcc
	global_load_dwordx4 v[6:9], v[0:1], off
	global_load_dwordx4 v[10:13], v[2:3], off
	v_mov_b32_e32 v0, v5
	v_mad_u64_u32 v[0:1], s[0:1], s9, v18, v[0:1]
	v_add_co_u32_e32 v50, vcc, s6, v54
	v_mov_b32_e32 v5, v0
	v_lshlrev_b64 v[0:1], 4, v[4:5]
	v_addc_co_u32_e32 v51, vcc, 0, v55, vcc
	v_add_co_u32_e32 v0, vcc, v14, v0
	v_addc_co_u32_e32 v1, vcc, v15, v1, vcc
	global_load_dwordx4 v[14:17], v[0:1], off
	v_mov_b32_e32 v0, 0xfffff160
	v_mad_u64_u32 v[0:1], s[0:1], s8, v0, v[2:3]
	s_mul_i32 s0, s9, 0xfffff160
	v_lshlrev_b32_e32 v4, 4, v18
	s_sub_i32 s0, s0, s8
	buffer_store_dword v18, off, s[28:31], 0 offset:12 ; 4-byte Folded Spill
	buffer_store_dword v4, off, s[28:31], 0 offset:324 ; 4-byte Folded Spill
	global_load_dwordx4 v[80:83], v4, s[12:13]
	v_add_u32_e32 v1, s0, v1
	global_load_dwordx4 v[18:21], v[0:1], off
	global_load_dwordx4 v[137:140], v52, s[12:13]
	global_load_dwordx4 v[84:87], v52, s[12:13] offset:864
	global_load_dwordx4 v[92:95], v[50:51], off offset:512
	global_load_dwordx4 v[88:91], v[50:51], off offset:1376
	v_add_co_u32_e32 v0, vcc, s14, v0
	v_addc_co_u32_e32 v1, vcc, v1, v53, vcc
	v_add_co_u32_e32 v2, vcc, s14, v0
	v_addc_co_u32_e32 v3, vcc, v1, v53, vcc
	s_movk_i32 s0, 0x2000
	s_mul_hi_u32 s1, s8, 0xfffffdf6
	global_load_dwordx4 v[22:25], v[0:1], off
	global_load_dwordx4 v[26:29], v[2:3], off
	v_add_co_u32_e32 v0, vcc, s0, v54
	s_mul_i32 s0, s9, 0xfffffdf6
	s_sub_i32 s1, s1, s8
	s_add_i32 s1, s1, s0
	s_mul_i32 s0, s8, 0xfffffdf6
	v_addc_co_u32_e32 v1, vcc, 0, v55, vcc
	s_lshl_b64 s[16:17], s[0:1], 4
	v_mov_b32_e32 v4, s17
	v_add_co_u32_e32 v2, vcc, s16, v2
	v_addc_co_u32_e32 v3, vcc, v3, v4, vcc
	global_load_dwordx4 v[30:33], v[2:3], off
	global_load_dwordx4 v[96:99], v52, s[12:13] offset:1728
	v_add_co_u32_e32 v2, vcc, s14, v2
	v_addc_co_u32_e32 v3, vcc, v3, v53, vcc
	global_load_dwordx4 v[34:37], v[2:3], off
	v_add_co_u32_e32 v2, vcc, s14, v2
	v_addc_co_u32_e32 v3, vcc, v3, v53, vcc
	global_load_dwordx4 v[38:41], v[2:3], off
	global_load_dwordx4 v[125:128], v[0:1], off offset:1888
	global_load_dwordx4 v[101:104], v[0:1], off offset:2752
	v_add_co_u32_e32 v2, vcc, s16, v2
	v_addc_co_u32_e32 v3, vcc, v3, v4, vcc
	global_load_dwordx4 v[42:45], v[2:3], off
	global_load_dwordx4 v[109:112], v52, s[12:13] offset:2592
	v_add_co_u32_e32 v2, vcc, s14, v2
	v_addc_co_u32_e32 v3, vcc, v3, v53, vcc
	global_load_dwordx4 v[46:49], v[2:3], off
	global_load_dwordx4 v[129:132], v[50:51], off offset:2240
	global_load_dwordx4 v[105:108], v[50:51], off offset:3104
	v_add_co_u32_e32 v2, vcc, s14, v2
	v_addc_co_u32_e32 v3, vcc, v3, v53, vcc
	global_load_dwordx4 v[56:59], v[2:3], off
	global_load_dwordx4 v[117:120], v[0:1], off offset:3616
	v_add_co_u32_e32 v2, vcc, s16, v2
	v_addc_co_u32_e32 v3, vcc, v3, v4, vcc
	global_load_dwordx4 v[60:63], v[2:3], off
	global_load_dwordx4 v[113:116], v52, s[12:13] offset:3456
	v_add_co_u32_e32 v2, vcc, s14, v2
	v_addc_co_u32_e32 v3, vcc, v3, v53, vcc
	global_load_dwordx4 v[64:67], v[2:3], off
	global_load_dwordx4 v[121:124], v[50:51], off offset:3968
	v_add_co_u32_e32 v4, vcc, s14, v2
	v_addc_co_u32_e32 v5, vcc, v3, v53, vcc
	s_movk_i32 s0, 0x3000
	v_add_co_u32_e32 v2, vcc, s0, v54
	v_addc_co_u32_e32 v3, vcc, 0, v55, vcc
	global_load_dwordx4 v[68:71], v[4:5], off
	global_load_dwordx4 v[133:136], v[2:3], off offset:384
	s_load_dwordx2 s[6:7], s[4:5], 0x38
	buffer_store_dword v54, off, s[28:31], 0 offset:4 ; 4-byte Folded Spill
	buffer_store_dword v55, off, s[28:31], 0 offset:8 ; 4-byte Folded Spill
	v_cmp_gt_u16_e64 s[0:1], 18, v100
	s_waitcnt vmcnt(28)
	v_mul_f64 v[76:77], v[16:17], v[82:83]
	s_waitcnt vmcnt(26)
	v_mul_f64 v[50:51], v[8:9], v[139:140]
	;; [unrolled: 2-line block ×3, first 2 shown]
	v_mul_f64 v[53:54], v[6:7], v[139:140]
	v_mul_f64 v[74:75], v[10:11], v[94:95]
	;; [unrolled: 1-line block ×3, first 2 shown]
	v_fma_f64 v[14:15], v[14:15], v[80:81], v[76:77]
	v_fma_f64 v[6:7], v[6:7], v[137:138], v[50:51]
	buffer_store_dword v137, off, s[28:31], 0 offset:248 ; 4-byte Folded Spill
	s_nop 0
	buffer_store_dword v138, off, s[28:31], 0 offset:252 ; 4-byte Folded Spill
	buffer_store_dword v139, off, s[28:31], 0 offset:256 ; 4-byte Folded Spill
	;; [unrolled: 1-line block ×3, first 2 shown]
	v_fma_f64 v[10:11], v[10:11], v[92:93], v[72:73]
	buffer_store_dword v92, off, s[28:31], 0 offset:64 ; 4-byte Folded Spill
	s_nop 0
	buffer_store_dword v93, off, s[28:31], 0 offset:68 ; 4-byte Folded Spill
	buffer_store_dword v94, off, s[28:31], 0 offset:72 ; 4-byte Folded Spill
	;; [unrolled: 1-line block ×4, first 2 shown]
	s_nop 0
	buffer_store_dword v81, off, s[28:31], 0 offset:20 ; 4-byte Folded Spill
	buffer_store_dword v82, off, s[28:31], 0 offset:24 ; 4-byte Folded Spill
	;; [unrolled: 1-line block ×3, first 2 shown]
	v_mul_f64 v[50:51], v[20:21], v[86:87]
	s_waitcnt vmcnt(34)
	v_mul_f64 v[72:73], v[24:25], v[90:91]
	s_waitcnt vmcnt(31)
	;; [unrolled: 2-line block ×3, first 2 shown]
	v_mul_f64 v[76:77], v[28:29], v[127:128]
	v_fma_f64 v[8:9], v[8:9], v[137:138], -v[53:54]
	v_mul_f64 v[53:54], v[18:19], v[86:87]
	v_fma_f64 v[18:19], v[18:19], v[84:85], v[50:51]
	v_fma_f64 v[16:17], v[16:17], v[80:81], -v[78:79]
	v_mul_f64 v[80:81], v[32:33], v[98:99]
	buffer_store_dword v84, off, s[28:31], 0 offset:32 ; 4-byte Folded Spill
	s_nop 0
	buffer_store_dword v85, off, s[28:31], 0 offset:36 ; 4-byte Folded Spill
	buffer_store_dword v86, off, s[28:31], 0 offset:40 ; 4-byte Folded Spill
	;; [unrolled: 1-line block ×3, first 2 shown]
	v_fma_f64 v[12:13], v[12:13], v[92:93], -v[74:75]
	v_mul_f64 v[74:75], v[22:23], v[90:91]
	v_fma_f64 v[22:23], v[22:23], v[88:89], v[72:73]
	buffer_store_dword v88, off, s[28:31], 0 offset:48 ; 4-byte Folded Spill
	s_nop 0
	buffer_store_dword v89, off, s[28:31], 0 offset:52 ; 4-byte Folded Spill
	buffer_store_dword v90, off, s[28:31], 0 offset:56 ; 4-byte Folded Spill
	;; [unrolled: 1-line block ×3, first 2 shown]
	v_mul_f64 v[78:79], v[26:27], v[127:128]
	v_fma_f64 v[26:27], v[26:27], v[125:126], v[76:77]
	buffer_store_dword v125, off, s[28:31], 0 offset:200 ; 4-byte Folded Spill
	s_nop 0
	buffer_store_dword v126, off, s[28:31], 0 offset:204 ; 4-byte Folded Spill
	buffer_store_dword v127, off, s[28:31], 0 offset:208 ; 4-byte Folded Spill
	;; [unrolled: 1-line block ×3, first 2 shown]
	v_fma_f64 v[30:31], v[30:31], v[96:97], v[80:81]
	buffer_store_dword v96, off, s[28:31], 0 offset:88 ; 4-byte Folded Spill
	s_nop 0
	buffer_store_dword v97, off, s[28:31], 0 offset:92 ; 4-byte Folded Spill
	buffer_store_dword v98, off, s[28:31], 0 offset:96 ; 4-byte Folded Spill
	;; [unrolled: 1-line block ×3, first 2 shown]
	s_load_dwordx4 s[8:11], s[2:3], 0x0
	v_fma_f64 v[20:21], v[20:21], v[84:85], -v[53:54]
	v_fma_f64 v[24:25], v[24:25], v[88:89], -v[74:75]
	v_fma_f64 v[28:29], v[28:29], v[125:126], -v[78:79]
	v_fma_f64 v[32:33], v[32:33], v[96:97], -v[82:83]
	ds_write_b128 v52, v[6:9]
	ds_write_b128 v52, v[10:13] offset:4608
	ds_write_b128 v52, v[14:17] offset:9216
	;; [unrolled: 1-line block ×6, first 2 shown]
	s_waitcnt vmcnt(39)
	v_mul_f64 v[6:7], v[36:37], v[131:132]
	v_mul_f64 v[8:9], v[34:35], v[131:132]
	;; [unrolled: 1-line block ×4, first 2 shown]
	s_waitcnt vmcnt(38)
	v_mul_f64 v[18:19], v[48:49], v[107:108]
	s_waitcnt vmcnt(36)
	v_mul_f64 v[22:23], v[58:59], v[119:120]
	;; [unrolled: 2-line block ×4, first 2 shown]
	v_fma_f64 v[6:7], v[34:35], v[129:130], v[6:7]
	buffer_store_dword v129, off, s[28:31], 0 offset:216 ; 4-byte Folded Spill
	s_nop 0
	buffer_store_dword v130, off, s[28:31], 0 offset:220 ; 4-byte Folded Spill
	buffer_store_dword v131, off, s[28:31], 0 offset:224 ; 4-byte Folded Spill
	;; [unrolled: 1-line block ×3, first 2 shown]
	s_waitcnt vmcnt(34)
	v_mul_f64 v[34:35], v[70:71], v[135:136]
	v_mul_f64 v[12:13], v[38:39], v[103:104]
	v_fma_f64 v[10:11], v[38:39], v[101:102], v[10:11]
	buffer_store_dword v101, off, s[28:31], 0 offset:104 ; 4-byte Folded Spill
	s_nop 0
	buffer_store_dword v102, off, s[28:31], 0 offset:108 ; 4-byte Folded Spill
	buffer_store_dword v103, off, s[28:31], 0 offset:112 ; 4-byte Folded Spill
	buffer_store_dword v104, off, s[28:31], 0 offset:116 ; 4-byte Folded Spill
	v_mul_f64 v[16:17], v[42:43], v[111:112]
	v_fma_f64 v[14:15], v[42:43], v[109:110], v[14:15]
	buffer_store_dword v109, off, s[28:31], 0 offset:136 ; 4-byte Folded Spill
	s_nop 0
	buffer_store_dword v110, off, s[28:31], 0 offset:140 ; 4-byte Folded Spill
	buffer_store_dword v111, off, s[28:31], 0 offset:144 ; 4-byte Folded Spill
	buffer_store_dword v112, off, s[28:31], 0 offset:148 ; 4-byte Folded Spill
	;; [unrolled: 7-line block ×6, first 2 shown]
	v_fma_f64 v[34:35], v[68:69], v[133:134], v[34:35]
	v_fma_f64 v[8:9], v[36:37], v[129:130], -v[8:9]
	v_mul_f64 v[36:37], v[68:69], v[135:136]
	buffer_store_dword v133, off, s[28:31], 0 offset:232 ; 4-byte Folded Spill
	s_nop 0
	buffer_store_dword v134, off, s[28:31], 0 offset:236 ; 4-byte Folded Spill
	buffer_store_dword v135, off, s[28:31], 0 offset:240 ; 4-byte Folded Spill
	;; [unrolled: 1-line block ×3, first 2 shown]
	v_fma_f64 v[12:13], v[40:41], v[101:102], -v[12:13]
	v_fma_f64 v[16:17], v[44:45], v[109:110], -v[16:17]
	;; [unrolled: 1-line block ×7, first 2 shown]
	ds_write_b128 v52, v[6:9] offset:6336
	ds_write_b128 v52, v[10:13] offset:10944
	;; [unrolled: 1-line block ×8, first 2 shown]
	buffer_store_dword v100, off, s[28:31], 0 ; 4-byte Folded Spill
	s_and_saveexec_b64 s[2:3], s[0:1]
	s_cbranch_execz .LBB0_3
; %bb.2:
	buffer_load_dword v8, off, s[28:31], 0 offset:4 ; 4-byte Folded Reload
	buffer_load_dword v9, off, s[28:31], 0 offset:8 ; 4-byte Folded Reload
	v_mov_b32_e32 v6, s17
	v_add_co_u32_e32 v12, vcc, s16, v4
	v_addc_co_u32_e32 v13, vcc, v5, v6, vcc
	v_mov_b32_e32 v18, s15
	global_load_dwordx4 v[4:7], v[12:13], off
	s_waitcnt vmcnt(2)
	v_add_co_u32_e32 v8, vcc, 0x1000, v8
	s_waitcnt vmcnt(1)
	v_addc_co_u32_e32 v9, vcc, 0, v9, vcc
	v_add_co_u32_e32 v16, vcc, s14, v12
	global_load_dwordx4 v[8:11], v[8:9], off offset:224
	v_addc_co_u32_e32 v17, vcc, v13, v18, vcc
	global_load_dwordx4 v[12:15], v[16:17], off
	v_add_co_u32_e32 v28, vcc, s14, v16
	v_addc_co_u32_e32 v29, vcc, v17, v18, vcc
	global_load_dwordx4 v[16:19], v[0:1], off offset:736
	global_load_dwordx4 v[20:23], v[2:3], off offset:1248
	global_load_dwordx4 v[24:27], v[28:29], off
	s_waitcnt vmcnt(4)
	v_mul_f64 v[0:1], v[6:7], v[10:11]
	v_mul_f64 v[2:3], v[4:5], v[10:11]
	s_waitcnt vmcnt(2)
	v_mul_f64 v[10:11], v[14:15], v[18:19]
	v_mul_f64 v[18:19], v[12:13], v[18:19]
	;; [unrolled: 3-line block ×3, first 2 shown]
	v_fma_f64 v[0:1], v[4:5], v[8:9], v[0:1]
	v_fma_f64 v[2:3], v[6:7], v[8:9], -v[2:3]
	v_fma_f64 v[4:5], v[12:13], v[16:17], v[10:11]
	v_fma_f64 v[6:7], v[14:15], v[16:17], -v[18:19]
	;; [unrolled: 2-line block ×3, first 2 shown]
	ds_write_b128 v52, v[0:3] offset:4320
	ds_write_b128 v52, v[4:7] offset:8928
	;; [unrolled: 1-line block ×3, first 2 shown]
.LBB0_3:
	s_or_b64 exec, exec, s[2:3]
	s_waitcnt lgkmcnt(0)
	; wave barrier
	s_waitcnt lgkmcnt(0)
	ds_read_b128 v[84:87], v52
	ds_read_b128 v[32:35], v52 offset:864
	ds_read_b128 v[80:83], v52 offset:9216
	;; [unrolled: 1-line block ×14, first 2 shown]
                                        ; implicit-def: $vgpr4_vgpr5
                                        ; implicit-def: $vgpr60_vgpr61
                                        ; implicit-def: $vgpr64_vgpr65
	s_and_saveexec_b64 s[2:3], s[0:1]
	s_cbranch_execz .LBB0_5
; %bb.4:
	ds_read_b128 v[4:7], v52 offset:4320
	ds_read_b128 v[60:63], v52 offset:8928
	;; [unrolled: 1-line block ×3, first 2 shown]
.LBB0_5:
	s_or_b64 exec, exec, s[2:3]
	buffer_load_dword v55, off, s[28:31], 0 ; 4-byte Folded Reload
	s_waitcnt lgkmcnt(4)
	v_add_f64 v[44:45], v[40:41], v[80:81]
	s_movk_i32 s2, 0x6c
	v_add_f64 v[46:47], v[84:85], v[40:41]
	v_add_f64 v[53:54], v[42:43], -v[82:83]
	s_mov_b32 s15, 0xbfebb67a
	v_add_f64 v[88:89], v[36:37], v[28:29]
	v_add_f64 v[90:91], v[78:79], v[70:71]
	s_load_dwordx2 s[4:5], s[4:5], 0x8
	v_fma_f64 v[50:51], v[44:45], -0.5, v[84:85]
	v_add_f64 v[84:85], v[42:43], v[82:83]
	v_add_f64 v[42:43], v[86:87], v[42:43]
	v_fma_f64 v[84:85], v[84:85], -0.5, v[86:87]
	v_fma_f64 v[86:87], v[88:89], -0.5, v[32:33]
	v_add_f64 v[88:89], v[38:39], -v[30:31]
	s_waitcnt vmcnt(0)
	v_add_co_u32_e32 v204, vcc, s2, v55
	s_movk_i32 s2, 0xa2
	v_add_co_u32_e32 v212, vcc, s2, v55
	s_movk_i32 s2, 0xd8
	v_add_co_u32_e32 v196, vcc, 54, v55
	v_add_co_u32_e32 v220, vcc, s2, v55
	s_movk_i32 s2, 0x10e
	v_add_co_u32_e32 v56, vcc, s2, v55
	v_addc_co_u32_e64 v44, s[2:3], 0, 0, vcc
	s_mov_b32 s2, 0xe8584caa
	s_mov_b32 s3, 0x3febb67a
	;; [unrolled: 1-line block ×3, first 2 shown]
	buffer_store_dword v44, off, s[28:31], 0 offset:328 ; 4-byte Folded Spill
	v_add_f64 v[44:45], v[46:47], v[80:81]
	v_fma_f64 v[48:49], v[53:54], s[2:3], v[50:51]
	v_add_f64 v[80:81], v[40:41], -v[80:81]
	v_fma_f64 v[40:41], v[53:54], s[14:15], v[50:51]
	v_add_f64 v[53:54], v[32:33], v[36:37]
	v_add_f64 v[46:47], v[42:43], v[82:83]
	;; [unrolled: 1-line block ×4, first 2 shown]
	s_waitcnt lgkmcnt(0)
	; wave barrier
	s_waitcnt lgkmcnt(0)
	v_fma_f64 v[50:51], v[80:81], s[14:15], v[84:85]
	v_fma_f64 v[42:43], v[80:81], s[2:3], v[84:85]
	v_add_f64 v[32:33], v[53:54], v[28:29]
	v_add_f64 v[53:54], v[68:69], v[72:73]
	v_fma_f64 v[80:81], v[82:83], -0.5, v[34:35]
	v_add_f64 v[82:83], v[36:37], -v[28:29]
	v_fma_f64 v[28:29], v[88:89], s[2:3], v[86:87]
	v_fma_f64 v[36:37], v[88:89], s[14:15], v[86:87]
	v_add_f64 v[84:85], v[76:77], v[68:69]
	v_add_f64 v[86:87], v[70:71], v[74:75]
	v_add_f64 v[88:89], v[70:71], -v[74:75]
	v_fma_f64 v[53:54], v[53:54], -0.5, v[76:77]
	v_add_f64 v[34:35], v[38:39], v[30:31]
	v_fma_f64 v[30:31], v[82:83], s[14:15], v[80:81]
	v_fma_f64 v[38:39], v[82:83], s[2:3], v[80:81]
	v_add_f64 v[82:83], v[24:25], v[16:17]
	v_add_f64 v[70:71], v[84:85], v[72:73]
	v_fma_f64 v[84:85], v[86:87], -0.5, v[78:79]
	v_add_f64 v[68:69], v[68:69], -v[72:73]
	v_fma_f64 v[76:77], v[88:89], s[2:3], v[53:54]
	v_fma_f64 v[80:81], v[88:89], s[14:15], v[53:54]
	v_add_f64 v[53:54], v[26:27], v[18:19]
	v_add_f64 v[72:73], v[90:91], v[74:75]
	;; [unrolled: 1-line block ×4, first 2 shown]
	v_fma_f64 v[86:87], v[82:83], -0.5, v[20:21]
	v_add_f64 v[88:89], v[26:27], -v[18:19]
	v_fma_f64 v[78:79], v[68:69], s[14:15], v[84:85]
	v_fma_f64 v[82:83], v[68:69], s[2:3], v[84:85]
	v_add_f64 v[26:27], v[22:23], v[26:27]
	v_fma_f64 v[53:54], v[53:54], -0.5, v[22:23]
	v_add_f64 v[68:69], v[24:25], -v[16:17]
	v_add_f64 v[16:17], v[74:75], v[16:17]
	v_add_f64 v[74:75], v[8:9], v[12:13]
	v_fma_f64 v[8:9], v[90:91], -0.5, v[8:9]
	v_add_f64 v[84:85], v[14:15], -v[2:3]
	v_fma_f64 v[20:21], v[88:89], s[2:3], v[86:87]
	v_fma_f64 v[24:25], v[88:89], s[14:15], v[86:87]
	v_add_f64 v[18:19], v[26:27], v[18:19]
	v_fma_f64 v[22:23], v[68:69], s[14:15], v[53:54]
	v_add_f64 v[86:87], v[14:15], v[2:3]
	;; [unrolled: 2-line block ×3, first 2 shown]
	v_fma_f64 v[116:117], v[84:85], s[2:3], v[8:9]
	v_fma_f64 v[128:129], v[84:85], s[14:15], v[8:9]
	v_add_f64 v[8:9], v[62:63], v[66:67]
	v_add_f64 v[120:121], v[74:75], v[0:1]
	;; [unrolled: 1-line block ×3, first 2 shown]
	v_fma_f64 v[10:11], v[86:87], -0.5, v[10:11]
	v_add_f64 v[0:1], v[12:13], -v[0:1]
	v_add_f64 v[12:13], v[4:5], v[60:61]
	v_fma_f64 v[4:5], v[53:54], -0.5, v[4:5]
	v_add_f64 v[53:54], v[62:63], -v[66:67]
	v_add_f64 v[62:63], v[6:7], v[62:63]
	;; [unrolled: 3-line block ×3, first 2 shown]
	v_fma_f64 v[118:119], v[0:1], s[14:15], v[10:11]
	v_fma_f64 v[130:131], v[0:1], s[2:3], v[10:11]
	v_add_f64 v[136:137], v[12:13], v[64:65]
	v_fma_f64 v[140:141], v[53:54], s[2:3], v[4:5]
	v_fma_f64 v[0:1], v[53:54], s[14:15], v[4:5]
	v_mul_lo_u16_e32 v4, 3, v55
	v_add_f64 v[138:139], v[62:63], v[66:67]
	v_lshlrev_b32_e32 v67, 4, v4
	v_mul_u32_u24_e32 v4, 3, v196
	v_fma_f64 v[142:143], v[8:9], s[14:15], v[6:7]
	v_fma_f64 v[2:3], v[8:9], s[2:3], v[6:7]
	v_lshlrev_b32_e32 v4, 4, v4
	ds_write_b128 v67, v[44:47]
	ds_write_b128 v67, v[48:51] offset:16
	ds_write_b128 v67, v[40:43] offset:32
	ds_write_b128 v4, v[32:35]
	ds_write_b128 v4, v[28:31] offset:16
	buffer_store_dword v4, off, s[28:31], 0 offset:284 ; 4-byte Folded Spill
	ds_write_b128 v4, v[36:39] offset:32
	v_mul_u32_u24_e32 v4, 3, v204
	v_lshlrev_b32_e32 v4, 4, v4
	ds_write_b128 v4, v[70:73]
	ds_write_b128 v4, v[76:79] offset:16
	buffer_store_dword v4, off, s[28:31], 0 offset:288 ; 4-byte Folded Spill
	ds_write_b128 v4, v[80:83] offset:32
	v_mul_u32_u24_e32 v4, 3, v212
	v_lshlrev_b32_e32 v4, 4, v4
	ds_write_b128 v4, v[16:19]
	ds_write_b128 v4, v[20:23] offset:16
	buffer_store_dword v4, off, s[28:31], 0 offset:292 ; 4-byte Folded Spill
	ds_write_b128 v4, v[24:27] offset:32
	v_mul_u32_u24_e32 v4, 3, v220
	v_mov_b32_e32 v61, v56
	v_lshlrev_b32_e32 v4, 4, v4
	ds_write_b128 v4, v[120:123]
	ds_write_b128 v4, v[116:119] offset:16
	buffer_store_dword v4, off, s[28:31], 0 offset:296 ; 4-byte Folded Spill
	ds_write_b128 v4, v[128:131] offset:32
	v_mul_u32_u24_e32 v4, 3, v61
	buffer_store_dword v4, off, s[28:31], 0 offset:344 ; 4-byte Folded Spill
	s_and_saveexec_b64 s[2:3], s[0:1]
	s_cbranch_execz .LBB0_7
; %bb.6:
	v_mul_u32_u24_e32 v4, 3, v61
	v_lshlrev_b32_e32 v4, 4, v4
	ds_write_b128 v4, v[136:139]
	ds_write_b128 v4, v[140:143] offset:16
	ds_write_b128 v4, v[0:3] offset:32
.LBB0_7:
	s_or_b64 exec, exec, s[2:3]
	s_waitcnt lgkmcnt(0)
	; wave barrier
	s_waitcnt lgkmcnt(0)
	ds_read_b128 v[132:135], v52
	ds_read_b128 v[124:127], v52 offset:864
	ds_read_b128 v[40:43], v52 offset:2304
	;; [unrolled: 1-line block ×11, first 2 shown]
	buffer_load_dword v44, off, s[28:31], 0 ; 4-byte Folded Reload
	s_waitcnt vmcnt(0)
	v_cmp_gt_u16_e64 s[2:3], 36, v44
	s_and_saveexec_b64 s[14:15], s[2:3]
	s_cbranch_execz .LBB0_9
; %bb.8:
	ds_read_b128 v[120:123], v52 offset:1728
	ds_read_b128 v[116:119], v52 offset:4032
	;; [unrolled: 1-line block ×6, first 2 shown]
.LBB0_9:
	s_or_b64 exec, exec, s[14:15]
	buffer_load_dword v45, off, s[28:31], 0 ; 4-byte Folded Reload
	s_movk_i32 s14, 0xab
	v_mov_b32_e32 v101, s5
	s_movk_i32 s15, 0x50
	v_mov_b32_e32 v100, s4
	s_waitcnt vmcnt(0)
	v_mul_lo_u16_sdwa v44, v45, s14 dst_sel:DWORD dst_unused:UNUSED_PAD src0_sel:BYTE_0 src1_sel:DWORD
	v_lshrrev_b16_e32 v53, 9, v44
	v_mul_lo_u16_e32 v44, 3, v53
	v_sub_u16_e32 v44, v45, v44
	v_and_b32_e32 v54, 0xff, v44
	v_mad_u64_u32 v[46:47], s[16:17], v54, s15, v[100:101]
	global_load_dwordx4 v[55:58], v[46:47], off offset:48
	global_load_dwordx4 v[48:51], v[46:47], off offset:32
	;; [unrolled: 1-line block ×3, first 2 shown]
	global_load_dwordx4 v[76:79], v[46:47], off
	s_waitcnt vmcnt(0) lgkmcnt(9)
	v_mul_f64 v[44:45], v[42:43], v[78:79]
	v_fma_f64 v[146:147], v[40:41], v[76:77], -v[44:45]
	v_mul_f64 v[40:41], v[40:41], v[78:79]
	v_fma_f64 v[44:45], v[42:43], v[76:77], v[40:41]
	s_waitcnt lgkmcnt(7)
	v_mul_f64 v[40:41], v[38:39], v[74:75]
	v_fma_f64 v[148:149], v[36:37], v[72:73], -v[40:41]
	v_mul_f64 v[36:37], v[36:37], v[74:75]
	v_fma_f64 v[150:151], v[38:39], v[72:73], v[36:37]
	s_waitcnt lgkmcnt(5)
	v_mul_f64 v[36:37], v[34:35], v[50:51]
	v_fma_f64 v[42:43], v[32:33], v[48:49], -v[36:37]
	v_mul_f64 v[32:33], v[32:33], v[50:51]
	buffer_store_dword v48, off, s[28:31], 0 offset:300 ; 4-byte Folded Spill
	s_nop 0
	buffer_store_dword v49, off, s[28:31], 0 offset:304 ; 4-byte Folded Spill
	buffer_store_dword v50, off, s[28:31], 0 offset:308 ; 4-byte Folded Spill
	;; [unrolled: 1-line block ×3, first 2 shown]
	v_fma_f64 v[48:49], v[34:35], v[48:49], v[32:33]
	s_waitcnt lgkmcnt(3)
	v_mul_f64 v[32:33], v[30:31], v[57:58]
	v_fma_f64 v[152:153], v[28:29], v[55:56], -v[32:33]
	v_mul_f64 v[28:29], v[28:29], v[57:58]
	buffer_store_dword v55, off, s[28:31], 0 offset:268 ; 4-byte Folded Spill
	s_nop 0
	buffer_store_dword v56, off, s[28:31], 0 offset:272 ; 4-byte Folded Spill
	buffer_store_dword v57, off, s[28:31], 0 offset:276 ; 4-byte Folded Spill
	;; [unrolled: 1-line block ×3, first 2 shown]
	global_load_dwordx4 v[68:71], v[46:47], off offset:64
	v_fma_f64 v[154:155], v[30:31], v[55:56], v[28:29]
	s_waitcnt vmcnt(0) lgkmcnt(1)
	v_mul_f64 v[28:29], v[26:27], v[70:71]
	v_fma_f64 v[46:47], v[24:25], v[68:69], -v[28:29]
	v_mul_f64 v[24:25], v[24:25], v[70:71]
	v_fma_f64 v[50:51], v[26:27], v[68:69], v[24:25]
	v_mul_lo_u16_sdwa v24, v196, s14 dst_sel:DWORD dst_unused:UNUSED_PAD src0_sel:BYTE_0 src1_sel:DWORD
	v_lshrrev_b16_e32 v56, 9, v24
	v_mul_lo_u16_e32 v24, 3, v56
	v_sub_u16_e32 v24, v196, v24
	v_and_b32_e32 v144, 0xff, v24
	v_mad_u64_u32 v[26:27], s[16:17], v144, s15, v[100:101]
	global_load_dwordx4 v[80:83], v[26:27], off offset:48
	global_load_dwordx4 v[84:87], v[26:27], off offset:32
	global_load_dwordx4 v[92:95], v[26:27], off offset:16
	global_load_dwordx4 v[96:99], v[26:27], off
	global_load_dwordx4 v[88:91], v[26:27], off offset:64
	s_mov_b32 s16, 0xe8584caa
	s_mov_b32 s17, 0x3febb67a
	s_waitcnt vmcnt(1)
	v_mul_f64 v[24:25], v[22:23], v[98:99]
	v_fma_f64 v[32:33], v[20:21], v[96:97], -v[24:25]
	v_mul_f64 v[20:21], v[20:21], v[98:99]
	v_fma_f64 v[22:23], v[22:23], v[96:97], v[20:21]
	v_mul_f64 v[20:21], v[18:19], v[94:95]
	v_fma_f64 v[34:35], v[16:17], v[92:93], -v[20:21]
	v_mul_f64 v[16:17], v[16:17], v[94:95]
	v_fma_f64 v[36:37], v[18:19], v[92:93], v[16:17]
	;; [unrolled: 4-line block ×4, first 2 shown]
	s_waitcnt vmcnt(0) lgkmcnt(0)
	v_mul_f64 v[8:9], v[6:7], v[90:91]
	v_fma_f64 v[26:27], v[4:5], v[88:89], -v[8:9]
	v_mul_f64 v[4:5], v[4:5], v[90:91]
	v_fma_f64 v[30:31], v[6:7], v[88:89], v[4:5]
	v_mul_lo_u16_sdwa v4, v204, s14 dst_sel:DWORD dst_unused:UNUSED_PAD src0_sel:BYTE_0 src1_sel:DWORD
	v_lshrrev_b16_e32 v145, 9, v4
	v_mul_lo_u16_e32 v4, 3, v145
	v_sub_u16_e32 v4, v204, v4
	v_and_b32_e32 v4, 0xff, v4
	v_mad_u64_u32 v[20:21], s[14:15], v4, s15, v[100:101]
	buffer_store_dword v4, off, s[28:31], 0 offset:264 ; 4-byte Folded Spill
	global_load_dwordx4 v[100:103], v[20:21], off offset:48
	global_load_dwordx4 v[104:107], v[20:21], off offset:32
	;; [unrolled: 1-line block ×3, first 2 shown]
	global_load_dwordx4 v[112:115], v[20:21], off
	s_mov_b32 s15, 0xbfebb67a
	s_mov_b32 s14, s16
	s_waitcnt vmcnt(3)
	v_mul_f64 v[14:15], v[140:141], v[102:103]
	s_waitcnt vmcnt(2)
	v_mul_f64 v[12:13], v[136:137], v[106:107]
	;; [unrolled: 2-line block ×4, first 2 shown]
	v_mul_f64 v[6:7], v[116:117], v[114:115]
	v_fma_f64 v[14:15], v[142:143], v[100:101], v[14:15]
	v_fma_f64 v[18:19], v[138:139], v[104:105], v[12:13]
	;; [unrolled: 1-line block ×3, first 2 shown]
	v_fma_f64 v[4:5], v[116:117], v[112:113], -v[4:5]
	v_fma_f64 v[10:11], v[118:119], v[112:113], v[6:7]
	global_load_dwordx4 v[116:119], v[20:21], off offset:64
	v_mul_f64 v[6:7], v[130:131], v[110:111]
	v_mul_f64 v[8:9], v[138:139], v[106:107]
	v_add_f64 v[130:131], v[150:151], -v[154:155]
	v_mul_f64 v[12:13], v[142:143], v[102:103]
	s_waitcnt lgkmcnt(0)
	; wave barrier
	v_fma_f64 v[6:7], v[128:129], v[108:109], -v[6:7]
	v_add_f64 v[128:129], v[148:149], v[152:153]
	v_fma_f64 v[8:9], v[136:137], v[104:105], -v[8:9]
	v_fma_f64 v[12:13], v[140:141], v[100:101], -v[12:13]
	v_fma_f64 v[128:129], v[128:129], -0.5, v[132:133]
	v_fma_f64 v[136:137], v[130:131], s[16:17], v[128:129]
	v_fma_f64 v[138:139], v[130:131], s[14:15], v[128:129]
	v_add_f64 v[128:129], v[134:135], v[150:151]
	v_add_f64 v[130:131], v[148:149], -v[152:153]
	v_add_f64 v[142:143], v[128:129], v[154:155]
	v_add_f64 v[128:129], v[150:151], v[154:155]
	v_fma_f64 v[128:129], v[128:129], -0.5, v[134:135]
	v_fma_f64 v[150:151], v[130:131], s[16:17], v[128:129]
	s_waitcnt vmcnt(0)
	v_mul_f64 v[20:21], v[2:3], v[118:119]
	v_fma_f64 v[20:21], v[0:1], v[116:117], -v[20:21]
	v_mul_f64 v[0:1], v[0:1], v[118:119]
	v_fma_f64 v[0:1], v[2:3], v[116:117], v[0:1]
	v_add_f64 v[2:3], v[132:133], v[148:149]
	v_fma_f64 v[148:149], v[130:131], s[14:15], v[128:129]
	v_add_f64 v[128:129], v[146:147], v[42:43]
	v_add_f64 v[130:131], v[48:49], -v[50:51]
	v_add_f64 v[2:3], v[2:3], v[152:153]
	v_add_f64 v[132:133], v[128:129], v[46:47]
	;; [unrolled: 1-line block ×3, first 2 shown]
	v_add_f64 v[42:43], v[42:43], -v[46:47]
	v_fma_f64 v[128:129], v[128:129], -0.5, v[146:147]
	v_fma_f64 v[134:135], v[130:131], s[16:17], v[128:129]
	v_fma_f64 v[130:131], v[130:131], s[14:15], v[128:129]
	v_add_f64 v[128:129], v[44:45], v[48:49]
	v_add_f64 v[48:49], v[48:49], v[50:51]
	;; [unrolled: 1-line block ×3, first 2 shown]
	v_fma_f64 v[44:45], v[48:49], -0.5, v[44:45]
	v_fma_f64 v[48:49], v[42:43], s[14:15], v[44:45]
	v_fma_f64 v[50:51], v[42:43], s[16:17], v[44:45]
	v_add_f64 v[42:43], v[2:3], v[132:133]
	v_add_f64 v[132:133], v[2:3], -v[132:133]
	v_add_f64 v[2:3], v[124:125], v[34:35]
	v_mul_f64 v[44:45], v[48:49], s[16:17]
	v_add_f64 v[2:3], v[2:3], v[38:39]
	v_fma_f64 v[140:141], v[134:135], 0.5, v[44:45]
	v_mul_f64 v[44:45], v[130:131], -0.5
	v_mul_f64 v[134:135], v[134:135], s[14:15]
	v_add_f64 v[46:47], v[136:137], v[140:141]
	v_fma_f64 v[152:153], v[50:51], s[16:17], v[44:45]
	v_mul_f64 v[50:51], v[50:51], -0.5
	v_add_f64 v[44:45], v[142:143], v[146:147]
	v_fma_f64 v[154:155], v[48:49], 0.5, v[134:135]
	v_add_f64 v[134:135], v[142:143], -v[146:147]
	v_add_f64 v[136:137], v[136:137], -v[140:141]
	v_add_f64 v[128:129], v[138:139], v[152:153]
	v_fma_f64 v[50:51], v[130:131], s[14:15], v[50:51]
	v_add_f64 v[140:141], v[138:139], -v[152:153]
	v_add_f64 v[48:49], v[148:149], v[154:155]
	v_add_f64 v[138:139], v[148:149], -v[154:155]
	v_add_f64 v[130:131], v[150:151], v[50:51]
	;; [unrolled: 2-line block ×3, first 2 shown]
	v_add_f64 v[34:35], v[34:35], -v[38:39]
	v_fma_f64 v[50:51], v[50:51], -0.5, v[124:125]
	v_add_f64 v[124:125], v[36:37], -v[40:41]
	v_fma_f64 v[152:153], v[124:125], s[16:17], v[50:51]
	v_fma_f64 v[50:51], v[124:125], s[14:15], v[50:51]
	v_add_f64 v[124:125], v[126:127], v[36:37]
	v_add_f64 v[36:37], v[36:37], v[40:41]
	;; [unrolled: 1-line block ×3, first 2 shown]
	v_fma_f64 v[36:37], v[36:37], -0.5, v[126:127]
	v_fma_f64 v[40:41], v[34:35], s[14:15], v[36:37]
	v_fma_f64 v[34:35], v[34:35], s[16:17], v[36:37]
	v_add_f64 v[36:37], v[32:33], v[24:25]
	v_add_f64 v[150:151], v[36:37], v[26:27]
	;; [unrolled: 1-line block ×3, first 2 shown]
	v_add_f64 v[24:25], v[24:25], -v[26:27]
	v_fma_f64 v[32:33], v[36:37], -0.5, v[32:33]
	v_add_f64 v[36:37], v[28:29], -v[30:31]
	v_fma_f64 v[126:127], v[36:37], s[16:17], v[32:33]
	v_fma_f64 v[32:33], v[36:37], s[14:15], v[32:33]
	v_add_f64 v[36:37], v[22:23], v[28:29]
	v_add_f64 v[28:29], v[28:29], v[30:31]
	;; [unrolled: 1-line block ×3, first 2 shown]
	v_fma_f64 v[22:23], v[28:29], -0.5, v[22:23]
	v_mul_f64 v[28:29], v[32:33], -0.5
	v_add_f64 v[36:37], v[2:3], v[150:151]
	v_add_f64 v[150:151], v[2:3], -v[150:151]
	v_add_f64 v[2:3], v[6:7], v[12:13]
	v_mul_f64 v[30:31], v[126:127], s[14:15]
	v_add_f64 v[38:39], v[156:157], v[160:161]
	v_fma_f64 v[26:27], v[24:25], s[14:15], v[22:23]
	v_fma_f64 v[22:23], v[24:25], s[16:17], v[22:23]
	v_mul_f64 v[24:25], v[26:27], s[16:17]
	v_fma_f64 v[28:29], v[22:23], s[16:17], v[28:29]
	v_mul_f64 v[22:23], v[22:23], -0.5
	v_fma_f64 v[26:27], v[26:27], 0.5, v[30:31]
	v_add_f64 v[30:31], v[18:19], -v[0:1]
	v_fma_f64 v[24:25], v[126:127], 0.5, v[24:25]
	v_add_f64 v[146:147], v[50:51], v[28:29]
	v_fma_f64 v[22:23], v[32:33], s[14:15], v[22:23]
	v_add_f64 v[126:127], v[40:41], v[26:27]
	v_add_f64 v[158:159], v[50:51], -v[28:29]
	v_add_f64 v[28:29], v[6:7], -v[12:13]
	v_add_f64 v[124:125], v[152:153], v[24:25]
	v_add_f64 v[154:155], v[152:153], -v[24:25]
	v_add_f64 v[148:149], v[34:35], v[22:23]
	v_add_f64 v[152:153], v[156:157], -v[160:161]
	v_add_f64 v[160:161], v[34:35], -v[22:23]
	v_fma_f64 v[22:23], v[2:3], -0.5, v[120:121]
	v_add_f64 v[24:25], v[16:17], -v[14:15]
	v_add_f64 v[156:157], v[40:41], -v[26:27]
	v_fma_f64 v[2:3], v[24:25], s[16:17], v[22:23]
	v_fma_f64 v[22:23], v[24:25], s[14:15], v[22:23]
	v_add_f64 v[24:25], v[16:17], v[14:15]
	v_fma_f64 v[26:27], v[24:25], -0.5, v[122:123]
	v_fma_f64 v[24:25], v[28:29], s[14:15], v[26:27]
	v_fma_f64 v[26:27], v[28:29], s[16:17], v[26:27]
	v_add_f64 v[28:29], v[8:9], v[20:21]
	v_fma_f64 v[28:29], v[28:29], -0.5, v[4:5]
	v_fma_f64 v[32:33], v[30:31], s[16:17], v[28:29]
	v_fma_f64 v[34:35], v[30:31], s[14:15], v[28:29]
	v_add_f64 v[28:29], v[18:19], v[0:1]
	v_add_f64 v[30:31], v[8:9], -v[20:21]
	v_fma_f64 v[28:29], v[28:29], -0.5, v[10:11]
	v_fma_f64 v[40:41], v[30:31], s[14:15], v[28:29]
	v_fma_f64 v[50:51], v[30:31], s[16:17], v[28:29]
	v_mul_f64 v[30:31], v[34:35], -0.5
	v_mul_f64 v[28:29], v[40:41], s[16:17]
	v_fma_f64 v[30:31], v[50:51], s[16:17], v[30:31]
	v_fma_f64 v[28:29], v[32:33], 0.5, v[28:29]
	v_mul_f64 v[32:33], v[32:33], s[14:15]
	v_add_f64 v[232:233], v[22:23], -v[30:31]
	v_add_f64 v[228:229], v[2:3], -v[28:29]
	v_fma_f64 v[32:33], v[40:41], 0.5, v[32:33]
	v_mul_f64 v[40:41], v[50:51], -0.5
	v_add_f64 v[230:231], v[24:25], -v[32:33]
	v_fma_f64 v[34:35], v[34:35], s[14:15], v[40:41]
	v_mul_u32_u24_e32 v40, 18, v53
	v_add_lshl_u32 v40, v40, v54, 4
	ds_write_b128 v40, v[42:45]
	ds_write_b128 v40, v[46:49] offset:48
	ds_write_b128 v40, v[128:131] offset:96
	;; [unrolled: 1-line block ×4, first 2 shown]
	buffer_store_dword v40, off, s[28:31], 0 offset:320 ; 4-byte Folded Spill
	ds_write_b128 v40, v[140:143] offset:240
	v_mul_u32_u24_e32 v40, 18, v56
	v_add_lshl_u32 v53, v40, v144, 4
	v_add_f64 v[234:235], v[26:27], -v[34:35]
	ds_write_b128 v53, v[36:39]
	ds_write_b128 v53, v[124:127] offset:48
	ds_write_b128 v53, v[146:149] offset:96
	;; [unrolled: 1-line block ×5, first 2 shown]
	v_mul_u32_u24_e32 v36, 18, v145
	buffer_store_dword v36, off, s[28:31], 0 offset:316 ; 4-byte Folded Spill
	s_and_saveexec_b64 s[14:15], s[2:3]
	s_cbranch_execz .LBB0_11
; %bb.10:
	v_add_f64 v[16:17], v[122:123], v[16:17]
	v_add_f64 v[10:11], v[10:11], v[18:19]
	;; [unrolled: 1-line block ×12, first 2 shown]
	v_add_f64 v[2:3], v[14:15], -v[0:1]
	v_add_f64 v[14:15], v[14:15], v[0:1]
	v_add_f64 v[12:13], v[16:17], v[18:19]
	v_add_f64 v[0:1], v[16:17], -v[18:19]
	buffer_load_dword v16, off, s[28:31], 0 offset:264 ; 4-byte Folded Reload
	buffer_load_dword v17, off, s[28:31], 0 offset:316 ; 4-byte Folded Reload
	s_waitcnt vmcnt(0)
	v_add_lshl_u32 v16, v17, v16, 4
	ds_write_b128 v16, v[228:231] offset:192
	ds_write_b128 v16, v[8:11] offset:48
	;; [unrolled: 1-line block ×3, first 2 shown]
	ds_write_b128 v16, v[12:15]
	ds_write_b128 v16, v[0:3] offset:144
	ds_write_b128 v16, v[232:235] offset:240
.LBB0_11:
	s_or_b64 exec, exec, s[14:15]
	s_waitcnt lgkmcnt(0)
	; wave barrier
	s_waitcnt lgkmcnt(0)
	ds_read_b128 v[180:183], v52
	ds_read_b128 v[6:9], v52 offset:864
	ds_read_b128 v[10:13], v52 offset:1728
	;; [unrolled: 1-line block ×15, first 2 shown]
	buffer_load_dword v50, off, s[28:31], 0 ; 4-byte Folded Reload
	v_mov_b32_e32 v4, 57
	s_movk_i32 s14, 0xf0
	s_mov_b32 s17, 0x3fe6a09e
	s_mov_b32 s22, 0xcf328d46
	;; [unrolled: 1-line block ×9, first 2 shown]
	s_waitcnt vmcnt(0)
	v_mul_lo_u16_sdwa v4, v50, v4 dst_sel:DWORD dst_unused:UNUSED_PAD src0_sel:BYTE_0 src1_sel:DWORD
	v_lshrrev_b16_e32 v4, 10, v4
	v_mul_lo_u16_e32 v5, 18, v4
	v_sub_u16_e32 v5, v50, v5
	v_mov_b32_e32 v51, s5
	v_and_b32_e32 v5, 0xff, v5
	v_mov_b32_e32 v50, s4
	v_mad_u64_u32 v[50:51], s[14:15], v5, s14, v[50:51]
	global_load_dwordx4 v[120:123], v[50:51], off offset:288
	global_load_dwordx4 v[124:127], v[50:51], off offset:272
	;; [unrolled: 1-line block ×4, first 2 shown]
	s_mov_b32 s14, 0x667f3bcd
	s_mov_b32 s15, 0xbfe6a09e
	;; [unrolled: 1-line block ×3, first 2 shown]
	v_mul_u32_u24_e32 v4, 0x120, v4
	v_or_b32_e32 v4, v4, v5
	v_lshlrev_b32_e32 v56, 4, v4
	s_waitcnt vmcnt(0) lgkmcnt(14)
	v_mul_f64 v[132:133], v[8:9], v[146:147]
	v_fma_f64 v[192:193], v[6:7], v[144:145], -v[132:133]
	global_load_dwordx4 v[132:135], v[50:51], off offset:352
	global_load_dwordx4 v[136:139], v[50:51], off offset:336
	;; [unrolled: 1-line block ×4, first 2 shown]
	v_mul_f64 v[6:7], v[6:7], v[146:147]
	global_load_dwordx4 v[148:151], v[50:51], off offset:416
	global_load_dwordx4 v[152:155], v[50:51], off offset:400
	;; [unrolled: 1-line block ×4, first 2 shown]
	v_fma_f64 v[6:7], v[8:9], v[144:145], v[6:7]
	s_waitcnt lgkmcnt(13)
	v_mul_f64 v[8:9], v[12:13], v[130:131]
	v_fma_f64 v[8:9], v[10:11], v[128:129], -v[8:9]
	v_mul_f64 v[10:11], v[10:11], v[130:131]
	v_fma_f64 v[10:11], v[12:13], v[128:129], v[10:11]
	s_waitcnt lgkmcnt(12)
	v_mul_f64 v[12:13], v[16:17], v[126:127]
	v_fma_f64 v[12:13], v[14:15], v[124:125], -v[12:13]
	v_mul_f64 v[14:15], v[14:15], v[126:127]
	;; [unrolled: 5-line block ×3, first 2 shown]
	v_fma_f64 v[18:19], v[20:21], v[120:121], v[18:19]
	s_waitcnt vmcnt(4) lgkmcnt(10)
	v_mul_f64 v[20:21], v[24:25], v[162:163]
	v_fma_f64 v[20:21], v[22:23], v[160:161], -v[20:21]
	v_mul_f64 v[22:23], v[22:23], v[162:163]
	v_fma_f64 v[22:23], v[24:25], v[160:161], v[22:23]
	s_waitcnt lgkmcnt(9)
	v_mul_f64 v[24:25], v[28:29], v[142:143]
	v_fma_f64 v[24:25], v[26:27], v[140:141], -v[24:25]
	v_mul_f64 v[26:27], v[26:27], v[142:143]
	v_fma_f64 v[26:27], v[28:29], v[140:141], v[26:27]
	s_waitcnt lgkmcnt(8)
	;; [unrolled: 5-line block ×3, first 2 shown]
	v_mul_f64 v[32:33], v[36:37], v[134:135]
	v_fma_f64 v[32:33], v[34:35], v[132:133], -v[32:33]
	v_mul_f64 v[34:35], v[34:35], v[134:135]
	v_fma_f64 v[34:35], v[36:37], v[132:133], v[34:35]
	s_waitcnt vmcnt(0) lgkmcnt(6)
	v_mul_f64 v[36:37], v[40:41], v[174:175]
	v_fma_f64 v[36:37], v[38:39], v[172:173], -v[36:37]
	v_mul_f64 v[38:39], v[38:39], v[174:175]
	v_add_f64 v[36:37], v[192:193], -v[36:37]
	v_fma_f64 v[38:39], v[40:41], v[172:173], v[38:39]
	s_waitcnt lgkmcnt(5)
	v_mul_f64 v[40:41], v[44:45], v[158:159]
	v_fma_f64 v[192:193], v[192:193], 2.0, -v[36:37]
	v_add_f64 v[38:39], v[6:7], -v[38:39]
	v_fma_f64 v[40:41], v[42:43], v[156:157], -v[40:41]
	v_mul_f64 v[42:43], v[42:43], v[158:159]
	v_fma_f64 v[6:7], v[6:7], 2.0, -v[38:39]
	v_add_f64 v[40:41], v[8:9], -v[40:41]
	v_fma_f64 v[42:43], v[44:45], v[156:157], v[42:43]
	s_waitcnt lgkmcnt(4)
	v_mul_f64 v[44:45], v[48:49], v[154:155]
	v_fma_f64 v[8:9], v[8:9], 2.0, -v[40:41]
	v_add_f64 v[42:43], v[10:11], -v[42:43]
	v_fma_f64 v[44:45], v[46:47], v[152:153], -v[44:45]
	v_mul_f64 v[46:47], v[46:47], v[154:155]
	v_fma_f64 v[10:11], v[10:11], 2.0, -v[42:43]
	v_add_f64 v[44:45], v[12:13], -v[44:45]
	v_fma_f64 v[46:47], v[48:49], v[152:153], v[46:47]
	s_waitcnt lgkmcnt(3)
	v_mul_f64 v[48:49], v[166:167], v[150:151]
	v_fma_f64 v[12:13], v[12:13], 2.0, -v[44:45]
	v_add_f64 v[46:47], v[14:15], -v[46:47]
	v_fma_f64 v[48:49], v[164:165], v[148:149], -v[48:49]
	v_mul_f64 v[164:165], v[164:165], v[150:151]
	v_fma_f64 v[14:15], v[14:15], 2.0, -v[46:47]
	v_add_f64 v[48:49], v[16:17], -v[48:49]
	v_fma_f64 v[194:195], v[166:167], v[148:149], v[164:165]
	global_load_dwordx4 v[164:167], v[50:51], off offset:464
	global_load_dwordx4 v[168:171], v[50:51], off offset:448
	;; [unrolled: 1-line block ×3, first 2 shown]
	s_waitcnt lgkmcnt(0)
	; wave barrier
	s_waitcnt lgkmcnt(0)
	v_fma_f64 v[16:17], v[16:17], 2.0, -v[48:49]
	s_waitcnt vmcnt(0)
	v_mul_f64 v[50:51], v[190:191], v[178:179]
	v_fma_f64 v[50:51], v[188:189], v[176:177], -v[50:51]
	v_mul_f64 v[188:189], v[188:189], v[178:179]
	v_add_f64 v[50:51], v[20:21], -v[50:51]
	v_fma_f64 v[188:189], v[190:191], v[176:177], v[188:189]
	v_mul_f64 v[190:191], v[186:187], v[170:171]
	v_fma_f64 v[20:21], v[20:21], 2.0, -v[50:51]
	v_add_f64 v[188:189], v[22:23], -v[188:189]
	v_fma_f64 v[190:191], v[184:185], v[168:169], -v[190:191]
	v_mul_f64 v[184:185], v[184:185], v[170:171]
	v_add_f64 v[50:51], v[38:39], v[50:51]
	v_add_f64 v[20:21], v[192:193], -v[20:21]
	v_fma_f64 v[22:23], v[22:23], 2.0, -v[188:189]
	v_add_f64 v[190:191], v[24:25], -v[190:191]
	v_fma_f64 v[184:185], v[186:187], v[168:169], v[184:185]
	v_mul_f64 v[186:187], v[2:3], v[166:167]
	v_add_f64 v[188:189], v[36:37], -v[188:189]
	v_fma_f64 v[38:39], v[38:39], 2.0, -v[50:51]
	v_fma_f64 v[192:193], v[192:193], 2.0, -v[20:21]
	v_add_f64 v[22:23], v[6:7], -v[22:23]
	v_fma_f64 v[24:25], v[24:25], 2.0, -v[190:191]
	v_add_f64 v[184:185], v[26:27], -v[184:185]
	v_fma_f64 v[186:187], v[0:1], v[164:165], -v[186:187]
	v_mul_f64 v[0:1], v[0:1], v[166:167]
	v_add_f64 v[190:191], v[42:43], v[190:191]
	v_fma_f64 v[36:37], v[36:37], 2.0, -v[188:189]
	v_fma_f64 v[6:7], v[6:7], 2.0, -v[22:23]
	v_add_f64 v[24:25], v[8:9], -v[24:25]
	v_fma_f64 v[26:27], v[26:27], 2.0, -v[184:185]
	v_add_f64 v[184:185], v[40:41], -v[184:185]
	v_fma_f64 v[0:1], v[2:3], v[164:165], v[0:1]
	v_add_f64 v[2:3], v[180:181], -v[32:33]
	v_add_f64 v[32:33], v[182:183], -v[34:35]
	;; [unrolled: 1-line block ×3, first 2 shown]
	v_fma_f64 v[42:43], v[42:43], 2.0, -v[190:191]
	v_fma_f64 v[8:9], v[8:9], 2.0, -v[24:25]
	v_add_f64 v[26:27], v[10:11], -v[26:27]
	v_fma_f64 v[40:41], v[40:41], 2.0, -v[184:185]
	v_add_f64 v[0:1], v[30:31], -v[0:1]
	v_fma_f64 v[34:35], v[180:181], 2.0, -v[2:3]
	v_fma_f64 v[180:181], v[182:183], 2.0, -v[32:33]
	v_add_f64 v[182:183], v[18:19], -v[194:195]
	v_fma_f64 v[28:29], v[28:29], 2.0, -v[186:187]
	v_add_f64 v[48:49], v[32:33], v[48:49]
	v_fma_f64 v[10:11], v[10:11], 2.0, -v[26:27]
	v_add_f64 v[186:187], v[46:47], v[186:187]
	v_fma_f64 v[30:31], v[30:31], 2.0, -v[0:1]
	v_add_f64 v[16:17], v[34:35], -v[16:17]
	v_add_f64 v[0:1], v[44:45], -v[0:1]
	v_fma_f64 v[18:19], v[18:19], 2.0, -v[182:183]
	v_add_f64 v[182:183], v[2:3], -v[182:183]
	v_fma_f64 v[32:33], v[32:33], 2.0, -v[48:49]
	;; [unrolled: 2-line block ×4, first 2 shown]
	v_add_f64 v[201:202], v[16:17], -v[26:27]
	v_add_f64 v[18:19], v[180:181], -v[18:19]
	v_fma_f64 v[2:3], v[2:3], 2.0, -v[182:183]
	v_fma_f64 v[44:45], v[44:45], 2.0, -v[0:1]
	;; [unrolled: 1-line block ×4, first 2 shown]
	v_add_f64 v[194:195], v[34:35], -v[8:9]
	v_fma_f64 v[180:181], v[180:181], 2.0, -v[18:19]
	v_add_f64 v[205:206], v[18:19], v[24:25]
	v_fma_f64 v[24:25], v[16:17], 2.0, -v[201:202]
	v_fma_f64 v[16:17], v[190:191], s[16:17], v[48:49]
	v_fma_f64 v[8:9], v[34:35], 2.0, -v[194:195]
	v_fma_f64 v[34:35], v[40:41], s[14:15], v[2:3]
	v_add_f64 v[197:198], v[180:181], -v[10:11]
	v_fma_f64 v[26:27], v[18:19], 2.0, -v[205:206]
	v_fma_f64 v[207:208], v[184:185], s[16:17], v[16:17]
	v_fma_f64 v[16:17], v[0:1], s[16:17], v[188:189]
	;; [unrolled: 1-line block ×3, first 2 shown]
	v_fma_f64 v[10:11], v[180:181], 2.0, -v[197:198]
	v_fma_f64 v[180:181], v[42:43], s[14:15], v[32:33]
	v_fma_f64 v[42:43], v[48:49], 2.0, -v[207:208]
	v_add_f64 v[48:49], v[192:193], -v[12:13]
	v_fma_f64 v[12:13], v[44:45], s[14:15], v[36:37]
	v_fma_f64 v[209:210], v[186:187], s[14:15], v[16:17]
	v_fma_f64 v[34:35], v[2:3], 2.0, -v[199:200]
	v_fma_f64 v[2:3], v[184:185], s[16:17], v[182:183]
	v_fma_f64 v[180:181], v[40:41], s[16:17], v[180:181]
	v_add_f64 v[184:185], v[20:21], -v[30:31]
	v_fma_f64 v[190:191], v[190:191], s[14:15], v[2:3]
	v_fma_f64 v[2:3], v[192:193], 2.0, -v[48:49]
	v_add_f64 v[192:193], v[22:23], v[28:29]
	v_fma_f64 v[32:33], v[32:33], 2.0, -v[180:181]
	v_fma_f64 v[20:21], v[20:21], 2.0, -v[184:185]
	;; [unrolled: 1-line block ×4, first 2 shown]
	v_add_f64 v[182:183], v[6:7], -v[14:15]
	v_fma_f64 v[14:15], v[46:47], s[14:15], v[38:39]
	v_fma_f64 v[46:47], v[46:47], s[14:15], v[12:13]
	v_fma_f64 v[18:19], v[22:23], 2.0, -v[192:193]
	v_fma_f64 v[22:23], v[186:187], s[16:17], v[50:51]
	v_fma_f64 v[6:7], v[6:7], 2.0, -v[182:183]
	;; [unrolled: 2-line block ×3, first 2 shown]
	v_add_f64 v[36:37], v[197:198], v[48:49]
	v_fma_f64 v[213:214], v[0:1], s[16:17], v[22:23]
	v_add_f64 v[0:1], v[8:9], -v[2:3]
	v_fma_f64 v[22:23], v[20:21], s[14:15], v[24:25]
	v_add_f64 v[2:3], v[10:11], -v[6:7]
	v_fma_f64 v[14:15], v[38:39], 2.0, -v[44:45]
	v_fma_f64 v[48:49], v[44:45], s[18:19], v[180:181]
	v_fma_f64 v[30:31], v[50:51], 2.0, -v[213:214]
	v_fma_f64 v[6:7], v[8:9], 2.0, -v[0:1]
	v_fma_f64 v[50:51], v[184:185], s[16:17], v[201:202]
	v_fma_f64 v[188:189], v[213:214], s[24:25], v[207:208]
	v_fma_f64 v[8:9], v[10:11], 2.0, -v[2:3]
	v_fma_f64 v[16:17], v[14:15], s[22:23], v[32:33]
	v_fma_f64 v[10:11], v[12:13], s[22:23], v[34:35]
	;; [unrolled: 1-line block ×5, first 2 shown]
	v_fma_f64 v[16:17], v[32:33], 2.0, -v[12:13]
	v_fma_f64 v[32:33], v[18:19], s[14:15], v[26:27]
	v_fma_f64 v[18:19], v[18:19], s[14:15], v[22:23]
	v_fma_f64 v[14:15], v[34:35], 2.0, -v[10:11]
	v_add_f64 v[34:35], v[194:195], -v[182:183]
	v_fma_f64 v[182:183], v[192:193], s[16:17], v[205:206]
	v_fma_f64 v[20:21], v[20:21], s[16:17], v[32:33]
	v_fma_f64 v[32:33], v[30:31], s[20:21], v[42:43]
	v_fma_f64 v[22:23], v[24:25], 2.0, -v[18:19]
	v_fma_f64 v[38:39], v[194:195], 2.0, -v[34:35]
	v_fma_f64 v[182:183], v[184:185], s[16:17], v[182:183]
	v_fma_f64 v[24:25], v[26:27], 2.0, -v[20:21]
	v_fma_f64 v[26:27], v[28:29], s[20:21], v[40:41]
	v_fma_f64 v[28:29], v[28:29], s[24:25], v[32:33]
	v_fma_f64 v[186:187], v[205:206], 2.0, -v[182:183]
	v_fma_f64 v[26:27], v[30:31], s[22:23], v[26:27]
	v_fma_f64 v[32:33], v[42:43], 2.0, -v[28:29]
	;; [unrolled: 2-line block ×3, first 2 shown]
	v_fma_f64 v[40:41], v[197:198], 2.0, -v[36:37]
	v_fma_f64 v[42:43], v[44:45], s[22:23], v[42:43]
	v_fma_f64 v[44:45], v[46:47], s[24:25], v[48:49]
	v_fma_f64 v[46:47], v[199:200], 2.0, -v[42:43]
	v_fma_f64 v[48:49], v[180:181], 2.0, -v[44:45]
	v_fma_f64 v[180:181], v[192:193], s[14:15], v[50:51]
	v_fma_f64 v[50:51], v[209:210], s[24:25], v[190:191]
	v_fma_f64 v[184:185], v[201:202], 2.0, -v[180:181]
	v_fma_f64 v[236:237], v[213:214], s[20:21], v[50:51]
	v_fma_f64 v[188:189], v[190:191], 2.0, -v[236:237]
	v_fma_f64 v[190:191], v[207:208], 2.0, -v[238:239]
	ds_write_b128 v56, v[6:9]
	ds_write_b128 v56, v[14:17] offset:288
	ds_write_b128 v56, v[22:25] offset:576
	;; [unrolled: 1-line block ×15, first 2 shown]
	s_waitcnt lgkmcnt(0)
	; wave barrier
	s_waitcnt lgkmcnt(0)
	ds_read_b128 v[0:3], v52
	ds_read_b128 v[40:43], v52 offset:4608
	ds_read_b128 v[36:39], v52 offset:9216
	;; [unrolled: 1-line block ×14, first 2 shown]
	s_and_saveexec_b64 s[14:15], s[0:1]
	s_cbranch_execz .LBB0_13
; %bb.12:
	ds_read_b128 v[236:239], v52 offset:4320
	ds_read_b128 v[228:231], v52 offset:8928
	;; [unrolled: 1-line block ×3, first 2 shown]
.LBB0_13:
	s_or_b64 exec, exec, s[14:15]
	buffer_load_dword v60, off, s[28:31], 0 ; 4-byte Folded Reload
	v_mov_b32_e32 v59, s5
	s_movk_i32 s5, 0x11d0
	s_movk_i32 s16, 0x1000
	;; [unrolled: 1-line block ×3, first 2 shown]
	s_waitcnt vmcnt(0)
	v_lshlrev_b32_e32 v44, 5, v60
	v_add_co_u32_e32 v46, vcc, s4, v44
	v_addc_co_u32_e32 v47, vcc, 0, v59, vcc
	v_add_co_u32_e32 v44, vcc, s5, v46
	v_addc_co_u32_e32 v45, vcc, 0, v47, vcc
	v_add_co_u32_e32 v46, vcc, s16, v46
	v_addc_co_u32_e32 v47, vcc, 0, v47, vcc
	global_load_dwordx4 v[188:191], v[46:47], off offset:464
	global_load_dwordx4 v[192:195], v[44:45], off offset:16
	s_waitcnt vmcnt(1) lgkmcnt(13)
	v_mul_f64 v[44:45], v[42:43], v[190:191]
	v_fma_f64 v[44:45], v[40:41], v[188:189], -v[44:45]
	v_mul_f64 v[40:41], v[40:41], v[190:191]
	v_fma_f64 v[40:41], v[42:43], v[188:189], v[40:41]
	s_waitcnt vmcnt(0) lgkmcnt(12)
	v_mul_f64 v[42:43], v[38:39], v[194:195]
	v_fma_f64 v[42:43], v[36:37], v[192:193], -v[42:43]
	v_mul_f64 v[36:37], v[36:37], v[194:195]
	v_fma_f64 v[36:37], v[38:39], v[192:193], v[36:37]
	v_lshlrev_b32_e32 v38, 5, v196
	v_add_co_u32_e32 v46, vcc, s4, v38
	v_addc_co_u32_e32 v47, vcc, 0, v59, vcc
	v_add_co_u32_e32 v38, vcc, s5, v46
	v_addc_co_u32_e32 v39, vcc, 0, v47, vcc
	v_add_co_u32_e32 v46, vcc, s16, v46
	v_addc_co_u32_e32 v47, vcc, 0, v47, vcc
	global_load_dwordx4 v[200:203], v[46:47], off offset:464
	global_load_dwordx4 v[196:199], v[38:39], off offset:16
	s_waitcnt vmcnt(1) lgkmcnt(10)
	v_mul_f64 v[38:39], v[34:35], v[202:203]
	v_fma_f64 v[38:39], v[32:33], v[200:201], -v[38:39]
	v_mul_f64 v[32:33], v[32:33], v[202:203]
	v_fma_f64 v[32:33], v[34:35], v[200:201], v[32:33]
	s_waitcnt vmcnt(0) lgkmcnt(9)
	v_mul_f64 v[34:35], v[30:31], v[198:199]
	v_fma_f64 v[46:47], v[28:29], v[196:197], -v[34:35]
	v_mul_f64 v[28:29], v[28:29], v[198:199]
	v_fma_f64 v[48:49], v[30:31], v[196:197], v[28:29]
	;; [unrolled: 19-line block ×3, first 2 shown]
	v_lshlrev_b32_e32 v20, 5, v212
	v_add_co_u32_e32 v22, vcc, s4, v20
	v_addc_co_u32_e32 v23, vcc, 0, v59, vcc
	v_add_co_u32_e32 v20, vcc, s5, v22
	v_addc_co_u32_e32 v21, vcc, 0, v23, vcc
	;; [unrolled: 2-line block ×3, first 2 shown]
	global_load_dwordx4 v[216:219], v[22:23], off offset:464
	global_load_dwordx4 v[212:215], v[20:21], off offset:16
	s_waitcnt vmcnt(1) lgkmcnt(4)
	v_mul_f64 v[20:21], v[18:19], v[218:219]
	v_fma_f64 v[20:21], v[16:17], v[216:217], -v[20:21]
	v_mul_f64 v[16:17], v[16:17], v[218:219]
	v_fma_f64 v[186:187], v[18:19], v[216:217], v[16:17]
	s_waitcnt vmcnt(0) lgkmcnt(3)
	v_mul_f64 v[16:17], v[14:15], v[214:215]
	v_add_f64 v[18:19], v[44:45], -v[42:43]
	v_fma_f64 v[57:58], v[12:13], v[212:213], -v[16:17]
	v_mul_f64 v[12:13], v[12:13], v[214:215]
	v_fma_f64 v[54:55], v[14:15], v[212:213], v[12:13]
	v_lshlrev_b32_e32 v12, 5, v220
	v_add_co_u32_e32 v14, vcc, s4, v12
	v_addc_co_u32_e32 v15, vcc, 0, v59, vcc
	v_add_co_u32_e32 v12, vcc, s5, v14
	v_addc_co_u32_e32 v13, vcc, 0, v15, vcc
	v_add_co_u32_e32 v14, vcc, s16, v14
	v_addc_co_u32_e32 v15, vcc, 0, v15, vcc
	global_load_dwordx4 v[220:223], v[14:15], off offset:464
	global_load_dwordx4 v[224:227], v[12:13], off offset:16
	s_waitcnt vmcnt(1) lgkmcnt(1)
	v_mul_f64 v[12:13], v[10:11], v[222:223]
	buffer_load_dword v14, off, s[28:31], 0 offset:328 ; 4-byte Folded Reload
	v_fma_f64 v[12:13], v[8:9], v[220:221], -v[12:13]
	v_mul_f64 v[8:9], v[8:9], v[222:223]
	v_fma_f64 v[8:9], v[10:11], v[220:221], v[8:9]
	s_waitcnt vmcnt(1) lgkmcnt(0)
	v_mul_f64 v[10:11], v[6:7], v[226:227]
	v_fma_f64 v[10:11], v[4:5], v[224:225], -v[10:11]
	v_mul_f64 v[4:5], v[4:5], v[226:227]
	v_fma_f64 v[4:5], v[6:7], v[224:225], v[4:5]
	v_add_co_u32_e32 v6, vcc, s14, v60
	v_addc_co_u32_e64 v7, s[14:15], 0, -1, vcc
	v_cndmask_b32_e64 v6, v6, v61, s[0:1]
	s_mov_b32 s15, 0xbfebb67a
	s_waitcnt vmcnt(0)
	v_cndmask_b32_e64 v7, v7, v14, s[0:1]
	v_lshlrev_b64 v[6:7], 5, v[6:7]
	v_add_co_u32_e32 v14, vcc, s4, v6
	v_addc_co_u32_e32 v15, vcc, v59, v7, vcc
	v_add_co_u32_e32 v6, vcc, s5, v14
	v_addc_co_u32_e32 v7, vcc, 0, v15, vcc
	;; [unrolled: 2-line block ×3, first 2 shown]
	global_load_dwordx4 v[14:17], v[14:15], off offset:464
	s_nop 0
	global_load_dwordx4 v[22:25], v[6:7], off offset:16
	s_mov_b32 s4, 0xe8584caa
	s_mov_b32 s5, 0x3febb67a
	;; [unrolled: 1-line block ×3, first 2 shown]
	s_waitcnt vmcnt(1)
	v_mul_f64 v[6:7], v[230:231], v[16:17]
	v_fma_f64 v[59:60], v[228:229], v[14:15], -v[6:7]
	v_mul_f64 v[6:7], v[228:229], v[16:17]
	buffer_store_dword v14, off, s[28:31], 0 offset:328 ; 4-byte Folded Spill
	s_nop 0
	buffer_store_dword v15, off, s[28:31], 0 offset:332 ; 4-byte Folded Spill
	buffer_store_dword v16, off, s[28:31], 0 offset:336 ; 4-byte Folded Spill
	;; [unrolled: 1-line block ×3, first 2 shown]
	v_add_f64 v[16:17], v[40:41], -v[36:37]
	v_fma_f64 v[61:62], v[230:231], v[14:15], v[6:7]
	s_waitcnt vmcnt(4)
	v_mul_f64 v[6:7], v[234:235], v[24:25]
	v_fma_f64 v[63:64], v[232:233], v[22:23], -v[6:7]
	v_mul_f64 v[6:7], v[232:233], v[24:25]
	buffer_store_dword v22, off, s[28:31], 0 offset:348 ; 4-byte Folded Spill
	s_nop 0
	buffer_store_dword v23, off, s[28:31], 0 offset:352 ; 4-byte Folded Spill
	buffer_store_dword v24, off, s[28:31], 0 offset:356 ; 4-byte Folded Spill
	;; [unrolled: 1-line block ×3, first 2 shown]
	v_fma_f64 v[65:66], v[234:235], v[22:23], v[6:7]
	v_add_f64 v[6:7], v[0:1], v[44:45]
	v_add_f64 v[14:15], v[6:7], v[42:43]
	;; [unrolled: 1-line block ×3, first 2 shown]
	v_fma_f64 v[6:7], v[6:7], -0.5, v[0:1]
	v_fma_f64 v[0:1], v[16:17], s[4:5], v[6:7]
	v_fma_f64 v[22:23], v[16:17], s[14:15], v[6:7]
	v_add_f64 v[6:7], v[2:3], v[40:41]
	v_add_f64 v[16:17], v[6:7], v[36:37]
	;; [unrolled: 1-line block ×3, first 2 shown]
	v_fma_f64 v[6:7], v[6:7], -0.5, v[2:3]
	v_fma_f64 v[2:3], v[18:19], s[14:15], v[6:7]
	v_fma_f64 v[24:25], v[18:19], s[4:5], v[6:7]
	v_add_f64 v[6:7], v[252:253], v[38:39]
	v_add_f64 v[18:19], v[32:33], -v[48:49]
	v_add_f64 v[26:27], v[6:7], v[46:47]
	v_add_f64 v[6:7], v[38:39], v[46:47]
	v_fma_f64 v[6:7], v[6:7], -0.5, v[252:253]
	v_fma_f64 v[30:31], v[18:19], s[4:5], v[6:7]
	v_fma_f64 v[34:35], v[18:19], s[14:15], v[6:7]
	v_add_f64 v[6:7], v[254:255], v[32:33]
	v_add_f64 v[18:19], v[38:39], -v[46:47]
	v_add_f64 v[28:29], v[6:7], v[48:49]
	v_add_f64 v[6:7], v[32:33], v[48:49]
	;; [unrolled: 7-line block ×3, first 2 shown]
	v_fma_f64 v[6:7], v[6:7], -0.5, v[248:249]
	v_fma_f64 v[42:43], v[18:19], s[4:5], v[6:7]
	v_fma_f64 v[46:47], v[18:19], s[14:15], v[6:7]
	v_add_f64 v[6:7], v[250:251], v[180:181]
	v_add_f64 v[18:19], v[50:51], -v[182:183]
	v_add_f64 v[50:51], v[186:187], -v[54:55]
	v_add_f64 v[40:41], v[6:7], v[184:185]
	v_add_f64 v[6:7], v[180:181], v[184:185]
	v_fma_f64 v[6:7], v[6:7], -0.5, v[250:251]
	v_fma_f64 v[44:45], v[18:19], s[14:15], v[6:7]
	v_fma_f64 v[48:49], v[18:19], s[4:5], v[6:7]
	v_add_f64 v[6:7], v[244:245], v[20:21]
	v_add_f64 v[248:249], v[6:7], v[57:58]
	;; [unrolled: 1-line block ×3, first 2 shown]
	v_fma_f64 v[6:7], v[6:7], -0.5, v[244:245]
	v_fma_f64 v[18:19], v[50:51], s[4:5], v[6:7]
	v_fma_f64 v[244:245], v[50:51], s[14:15], v[6:7]
	v_add_f64 v[6:7], v[246:247], v[186:187]
	v_add_f64 v[50:51], v[20:21], -v[57:58]
	v_add_f64 v[250:251], v[6:7], v[54:55]
	v_add_f64 v[6:7], v[186:187], v[54:55]
	v_add_f64 v[54:55], v[8:9], -v[4:5]
	v_fma_f64 v[6:7], v[6:7], -0.5, v[246:247]
	v_fma_f64 v[20:21], v[50:51], s[14:15], v[6:7]
	v_fma_f64 v[246:247], v[50:51], s[4:5], v[6:7]
	v_add_f64 v[6:7], v[240:241], v[12:13]
	v_add_f64 v[252:253], v[6:7], v[10:11]
	;; [unrolled: 1-line block ×3, first 2 shown]
	v_add_f64 v[10:11], v[12:13], -v[10:11]
	v_fma_f64 v[50:51], v[6:7], -0.5, v[240:241]
	v_fma_f64 v[6:7], v[54:55], s[4:5], v[50:51]
	v_fma_f64 v[240:241], v[54:55], s[14:15], v[50:51]
	v_add_f64 v[50:51], v[242:243], v[8:9]
	v_add_f64 v[254:255], v[50:51], v[4:5]
	;; [unrolled: 1-line block ×3, first 2 shown]
	v_fma_f64 v[4:5], v[4:5], -0.5, v[242:243]
	v_fma_f64 v[8:9], v[10:11], s[14:15], v[4:5]
	v_fma_f64 v[242:243], v[10:11], s[4:5], v[4:5]
	v_add_f64 v[4:5], v[236:237], v[59:60]
	v_add_f64 v[10:11], v[61:62], -v[65:66]
	ds_write_b128 v52, v[14:17]
	ds_write_b128 v52, v[0:3] offset:4608
	ds_write_b128 v52, v[22:25] offset:9216
	;; [unrolled: 1-line block ×14, first 2 shown]
	v_add_f64 v[228:229], v[4:5], v[63:64]
	v_add_f64 v[4:5], v[59:60], v[63:64]
	v_fma_f64 v[4:5], v[4:5], -0.5, v[236:237]
	v_fma_f64 v[232:233], v[10:11], s[4:5], v[4:5]
	v_fma_f64 v[236:237], v[10:11], s[14:15], v[4:5]
	v_add_f64 v[4:5], v[238:239], v[61:62]
	v_add_f64 v[10:11], v[59:60], -v[63:64]
	v_add_f64 v[230:231], v[4:5], v[65:66]
	v_add_f64 v[4:5], v[61:62], v[65:66]
	v_fma_f64 v[4:5], v[4:5], -0.5, v[238:239]
	v_fma_f64 v[234:235], v[10:11], s[14:15], v[4:5]
	v_fma_f64 v[238:239], v[10:11], s[4:5], v[4:5]
	s_and_saveexec_b64 s[4:5], s[0:1]
	s_cbranch_execz .LBB0_15
; %bb.14:
	ds_write_b128 v52, v[228:231] offset:4320
	ds_write_b128 v52, v[232:235] offset:8928
	;; [unrolled: 1-line block ×3, first 2 shown]
.LBB0_15:
	s_or_b64 exec, exec, s[4:5]
	s_waitcnt lgkmcnt(0)
	; wave barrier
	s_waitcnt lgkmcnt(0)
	buffer_load_dword v4, off, s[28:31], 0  ; 4-byte Folded Reload
	s_add_u32 s4, s12, 0x3600
	s_addc_u32 s5, s13, 0
	ds_read_b128 v[0:3], v52
	v_mov_b32_e32 v5, s5
	s_movk_i32 s12, 0x2000
	s_waitcnt vmcnt(0)
	v_lshlrev_b32_e32 v20, 4, v4
	global_load_dwordx4 v[6:9], v20, s[4:5]
	v_add_co_u32_e32 v4, vcc, s4, v20
	v_addc_co_u32_e32 v5, vcc, 0, v5, vcc
	v_add_co_u32_e32 v18, vcc, s16, v4
	v_addc_co_u32_e32 v19, vcc, 0, v5, vcc
	s_waitcnt vmcnt(0) lgkmcnt(0)
	v_mul_f64 v[10:11], v[2:3], v[8:9]
	v_fma_f64 v[10:11], v[0:1], v[6:7], -v[10:11]
	v_mul_f64 v[0:1], v[0:1], v[8:9]
	v_fma_f64 v[12:13], v[2:3], v[6:7], v[0:1]
	global_load_dwordx4 v[6:9], v[18:19], off offset:512
	ds_read_b128 v[0:3], v52 offset:4608
	ds_write_b128 v52, v[10:13]
	s_waitcnt vmcnt(0) lgkmcnt(1)
	v_mul_f64 v[10:11], v[2:3], v[8:9]
	v_fma_f64 v[10:11], v[0:1], v[6:7], -v[10:11]
	v_mul_f64 v[0:1], v[0:1], v[8:9]
	v_fma_f64 v[12:13], v[2:3], v[6:7], v[0:1]
	buffer_load_dword v6, off, s[28:31], 0 offset:324 ; 4-byte Folded Reload
	ds_read_b128 v[0:3], v52 offset:9216
	ds_write_b128 v52, v[10:13] offset:4608
	s_waitcnt vmcnt(0)
	global_load_dwordx4 v[6:9], v6, s[4:5]
	s_waitcnt vmcnt(0) lgkmcnt(1)
	v_mul_f64 v[10:11], v[2:3], v[8:9]
	v_fma_f64 v[10:11], v[0:1], v[6:7], -v[10:11]
	v_mul_f64 v[0:1], v[0:1], v[8:9]
	v_fma_f64 v[12:13], v[2:3], v[6:7], v[0:1]
	global_load_dwordx4 v[6:9], v20, s[4:5] offset:864
	ds_read_b128 v[0:3], v52 offset:864
	ds_write_b128 v52, v[10:13] offset:9216
	s_waitcnt vmcnt(0) lgkmcnt(1)
	v_mul_f64 v[10:11], v[2:3], v[8:9]
	v_fma_f64 v[10:11], v[0:1], v[6:7], -v[10:11]
	v_mul_f64 v[0:1], v[0:1], v[8:9]
	v_fma_f64 v[12:13], v[2:3], v[6:7], v[0:1]
	global_load_dwordx4 v[6:9], v[18:19], off offset:1376
	ds_read_b128 v[0:3], v52 offset:5472
	ds_write_b128 v52, v[10:13] offset:864
	s_waitcnt vmcnt(0) lgkmcnt(1)
	v_mul_f64 v[10:11], v[2:3], v[8:9]
	v_fma_f64 v[10:11], v[0:1], v[6:7], -v[10:11]
	v_mul_f64 v[0:1], v[0:1], v[8:9]
	v_fma_f64 v[12:13], v[2:3], v[6:7], v[0:1]
	v_add_co_u32_e32 v0, vcc, s12, v4
	v_addc_co_u32_e32 v1, vcc, 0, v5, vcc
	ds_read_b128 v[6:9], v52 offset:10080
	ds_write_b128 v52, v[10:13] offset:5472
	global_load_dwordx4 v[10:13], v[0:1], off offset:1888
	s_waitcnt vmcnt(0) lgkmcnt(1)
	v_mul_f64 v[2:3], v[8:9], v[12:13]
	v_fma_f64 v[14:15], v[6:7], v[10:11], -v[2:3]
	v_mul_f64 v[2:3], v[6:7], v[12:13]
	v_fma_f64 v[16:17], v[8:9], v[10:11], v[2:3]
	global_load_dwordx4 v[10:13], v20, s[4:5] offset:1728
	ds_read_b128 v[6:9], v52 offset:1728
	ds_write_b128 v52, v[14:17] offset:10080
	s_waitcnt vmcnt(0) lgkmcnt(1)
	v_mul_f64 v[2:3], v[8:9], v[12:13]
	v_fma_f64 v[14:15], v[6:7], v[10:11], -v[2:3]
	v_mul_f64 v[2:3], v[6:7], v[12:13]
	v_fma_f64 v[16:17], v[8:9], v[10:11], v[2:3]
	global_load_dwordx4 v[10:13], v[18:19], off offset:2240
	ds_read_b128 v[6:9], v52 offset:6336
	ds_write_b128 v52, v[14:17] offset:1728
	s_waitcnt vmcnt(0) lgkmcnt(1)
	v_mul_f64 v[2:3], v[8:9], v[12:13]
	v_fma_f64 v[14:15], v[6:7], v[10:11], -v[2:3]
	v_mul_f64 v[2:3], v[6:7], v[12:13]
	v_fma_f64 v[16:17], v[8:9], v[10:11], v[2:3]
	global_load_dwordx4 v[10:13], v[0:1], off offset:2752
	ds_read_b128 v[6:9], v52 offset:10944
	ds_write_b128 v52, v[14:17] offset:6336
	s_waitcnt vmcnt(0) lgkmcnt(1)
	v_mul_f64 v[2:3], v[8:9], v[12:13]
	v_fma_f64 v[14:15], v[6:7], v[10:11], -v[2:3]
	v_mul_f64 v[2:3], v[6:7], v[12:13]
	v_fma_f64 v[16:17], v[8:9], v[10:11], v[2:3]
	global_load_dwordx4 v[10:13], v20, s[4:5] offset:2592
	ds_read_b128 v[6:9], v52 offset:2592
	ds_write_b128 v52, v[14:17] offset:10944
	s_waitcnt vmcnt(0) lgkmcnt(1)
	v_mul_f64 v[2:3], v[8:9], v[12:13]
	v_fma_f64 v[14:15], v[6:7], v[10:11], -v[2:3]
	v_mul_f64 v[2:3], v[6:7], v[12:13]
	v_fma_f64 v[16:17], v[8:9], v[10:11], v[2:3]
	global_load_dwordx4 v[10:13], v[18:19], off offset:3104
	ds_read_b128 v[6:9], v52 offset:7200
	ds_write_b128 v52, v[14:17] offset:2592
	s_waitcnt vmcnt(0) lgkmcnt(1)
	v_mul_f64 v[2:3], v[8:9], v[12:13]
	v_fma_f64 v[14:15], v[6:7], v[10:11], -v[2:3]
	v_mul_f64 v[2:3], v[6:7], v[12:13]
	v_fma_f64 v[16:17], v[8:9], v[10:11], v[2:3]
	global_load_dwordx4 v[10:13], v[0:1], off offset:3616
	ds_read_b128 v[6:9], v52 offset:11808
	ds_write_b128 v52, v[14:17] offset:7200
	s_waitcnt vmcnt(0) lgkmcnt(1)
	v_mul_f64 v[2:3], v[8:9], v[12:13]
	v_fma_f64 v[14:15], v[6:7], v[10:11], -v[2:3]
	v_mul_f64 v[2:3], v[6:7], v[12:13]
	v_fma_f64 v[16:17], v[8:9], v[10:11], v[2:3]
	global_load_dwordx4 v[10:13], v20, s[4:5] offset:3456
	ds_read_b128 v[6:9], v52 offset:3456
	s_movk_i32 s4, 0x3000
	ds_write_b128 v52, v[14:17] offset:11808
	s_waitcnt vmcnt(0) lgkmcnt(1)
	v_mul_f64 v[2:3], v[8:9], v[12:13]
	v_fma_f64 v[14:15], v[6:7], v[10:11], -v[2:3]
	v_mul_f64 v[2:3], v[6:7], v[12:13]
	v_fma_f64 v[16:17], v[8:9], v[10:11], v[2:3]
	global_load_dwordx4 v[10:13], v[18:19], off offset:3968
	ds_read_b128 v[6:9], v52 offset:8064
	ds_write_b128 v52, v[14:17] offset:3456
	s_waitcnt vmcnt(0) lgkmcnt(1)
	v_mul_f64 v[2:3], v[8:9], v[12:13]
	v_fma_f64 v[14:15], v[6:7], v[10:11], -v[2:3]
	v_mul_f64 v[2:3], v[6:7], v[12:13]
	v_fma_f64 v[16:17], v[8:9], v[10:11], v[2:3]
	v_add_co_u32_e32 v2, vcc, s4, v4
	v_addc_co_u32_e32 v3, vcc, 0, v5, vcc
	global_load_dwordx4 v[10:13], v[2:3], off offset:384
	ds_read_b128 v[6:9], v52 offset:12672
	ds_write_b128 v52, v[14:17] offset:8064
	s_waitcnt vmcnt(0) lgkmcnt(1)
	v_mul_f64 v[14:15], v[8:9], v[12:13]
	v_fma_f64 v[14:15], v[6:7], v[10:11], -v[14:15]
	v_mul_f64 v[6:7], v[6:7], v[12:13]
	v_fma_f64 v[16:17], v[8:9], v[10:11], v[6:7]
	ds_write_b128 v52, v[14:17] offset:12672
	s_and_saveexec_b64 s[4:5], s[0:1]
	s_cbranch_execz .LBB0_17
; %bb.16:
	v_add_co_u32_e32 v4, vcc, 0x1000, v4
	v_addc_co_u32_e32 v5, vcc, 0, v5, vcc
	global_load_dwordx4 v[10:13], v[4:5], off offset:224
	ds_read_b128 v[6:9], v52 offset:4320
	s_waitcnt vmcnt(0) lgkmcnt(0)
	v_mul_f64 v[4:5], v[8:9], v[12:13]
	v_fma_f64 v[4:5], v[6:7], v[10:11], -v[4:5]
	v_mul_f64 v[6:7], v[6:7], v[12:13]
	v_fma_f64 v[6:7], v[8:9], v[10:11], v[6:7]
	global_load_dwordx4 v[8:11], v[0:1], off offset:736
	ds_write_b128 v52, v[4:7] offset:4320
	ds_read_b128 v[4:7], v52 offset:8928
	s_waitcnt vmcnt(0) lgkmcnt(0)
	v_mul_f64 v[0:1], v[6:7], v[10:11]
	v_fma_f64 v[12:13], v[4:5], v[8:9], -v[0:1]
	v_mul_f64 v[0:1], v[4:5], v[10:11]
	v_fma_f64 v[14:15], v[6:7], v[8:9], v[0:1]
	global_load_dwordx4 v[0:3], v[2:3], off offset:1248
	ds_read_b128 v[4:7], v52 offset:13536
	ds_write_b128 v52, v[12:15] offset:8928
	s_waitcnt vmcnt(0) lgkmcnt(1)
	v_mul_f64 v[8:9], v[6:7], v[2:3]
	v_mul_f64 v[2:3], v[4:5], v[2:3]
	v_fma_f64 v[8:9], v[4:5], v[0:1], -v[8:9]
	v_fma_f64 v[10:11], v[6:7], v[0:1], v[2:3]
	ds_write_b128 v52, v[8:11] offset:13536
.LBB0_17:
	s_or_b64 exec, exec, s[4:5]
	s_waitcnt lgkmcnt(0)
	; wave barrier
	s_waitcnt lgkmcnt(0)
	ds_read_b128 v[44:47], v52
	ds_read_b128 v[28:31], v52 offset:864
	ds_read_b128 v[40:43], v52 offset:9216
	;; [unrolled: 1-line block ×14, first 2 shown]
	s_and_saveexec_b64 s[4:5], s[0:1]
	s_cbranch_execz .LBB0_19
; %bb.18:
	ds_read_b128 v[228:231], v52 offset:4320
	ds_read_b128 v[232:235], v52 offset:8928
	;; [unrolled: 1-line block ×3, first 2 shown]
.LBB0_19:
	s_or_b64 exec, exec, s[4:5]
	s_waitcnt lgkmcnt(4)
	v_add_f64 v[2:3], v[48:49], v[40:41]
	v_add_f64 v[54:55], v[50:51], -v[42:43]
	s_mov_b32 s4, 0xe8584caa
	s_mov_b32 s5, 0xbfebb67a
	;; [unrolled: 1-line block ×4, first 2 shown]
	v_add_f64 v[0:1], v[44:45], v[48:49]
	s_waitcnt lgkmcnt(0)
	v_fma_f64 v[2:3], v[2:3], -0.5, v[44:45]
	; wave barrier
	v_add_f64 v[0:1], v[0:1], v[40:41]
	v_add_f64 v[40:41], v[48:49], -v[40:41]
	v_fma_f64 v[44:45], v[54:55], s[4:5], v[2:3]
	v_fma_f64 v[180:181], v[54:55], s[12:13], v[2:3]
	v_add_f64 v[2:3], v[46:47], v[50:51]
	v_add_f64 v[48:49], v[38:39], -v[34:35]
	v_add_f64 v[2:3], v[2:3], v[42:43]
	v_add_f64 v[42:43], v[50:51], v[42:43]
	v_fma_f64 v[42:43], v[42:43], -0.5, v[46:47]
	v_fma_f64 v[46:47], v[40:41], s[12:13], v[42:43]
	v_fma_f64 v[182:183], v[40:41], s[4:5], v[42:43]
	v_add_f64 v[42:43], v[36:37], v[32:33]
	v_add_f64 v[40:41], v[28:29], v[36:37]
	ds_write_b128 v67, v[0:3]
	ds_write_b128 v67, v[44:47] offset:16
	ds_write_b128 v67, v[180:183] offset:32
	buffer_load_dword v0, off, s[28:31], 0 offset:284 ; 4-byte Folded Reload
	v_fma_f64 v[42:43], v[42:43], -0.5, v[28:29]
	v_add_f64 v[40:41], v[40:41], v[32:33]
	v_add_f64 v[32:33], v[36:37], -v[32:33]
	v_add_f64 v[36:37], v[18:19], -v[26:27]
	v_fma_f64 v[28:29], v[48:49], s[4:5], v[42:43]
	v_fma_f64 v[48:49], v[48:49], s[12:13], v[42:43]
	v_add_f64 v[42:43], v[30:31], v[38:39]
	v_add_f64 v[42:43], v[42:43], v[34:35]
	;; [unrolled: 1-line block ×3, first 2 shown]
	v_fma_f64 v[34:35], v[34:35], -0.5, v[30:31]
	v_fma_f64 v[30:31], v[32:33], s[12:13], v[34:35]
	v_fma_f64 v[50:51], v[32:33], s[4:5], v[34:35]
	v_add_f64 v[34:35], v[16:17], v[24:25]
	v_add_f64 v[32:33], v[20:21], v[16:17]
	v_add_f64 v[16:17], v[16:17], -v[24:25]
	s_waitcnt vmcnt(0)
	ds_write_b128 v0, v[40:43]
	ds_write_b128 v0, v[28:31] offset:16
	ds_write_b128 v0, v[48:51] offset:32
	buffer_load_dword v0, off, s[28:31], 0 offset:288 ; 4-byte Folded Reload
	v_fma_f64 v[34:35], v[34:35], -0.5, v[20:21]
	v_add_f64 v[32:33], v[32:33], v[24:25]
	v_fma_f64 v[20:21], v[36:37], s[4:5], v[34:35]
	v_fma_f64 v[36:37], v[36:37], s[12:13], v[34:35]
	v_add_f64 v[34:35], v[22:23], v[18:19]
	v_add_f64 v[18:19], v[18:19], v[26:27]
	;; [unrolled: 1-line block ×3, first 2 shown]
	v_fma_f64 v[18:19], v[18:19], -0.5, v[22:23]
	v_add_f64 v[26:27], v[14:15], -v[10:11]
	v_fma_f64 v[22:23], v[16:17], s[12:13], v[18:19]
	v_fma_f64 v[38:39], v[16:17], s[4:5], v[18:19]
	v_add_f64 v[18:19], v[12:13], v[8:9]
	v_add_f64 v[16:17], v[240:241], v[12:13]
	s_waitcnt vmcnt(0)
	ds_write_b128 v0, v[32:35]
	ds_write_b128 v0, v[20:23] offset:16
	ds_write_b128 v0, v[36:39] offset:32
	buffer_load_dword v0, off, s[28:31], 0 offset:292 ; 4-byte Folded Reload
	v_fma_f64 v[18:19], v[18:19], -0.5, v[240:241]
	v_add_f64 v[16:17], v[16:17], v[8:9]
	v_add_f64 v[8:9], v[12:13], -v[8:9]
	v_fma_f64 v[24:25], v[26:27], s[4:5], v[18:19]
	v_fma_f64 v[184:185], v[26:27], s[12:13], v[18:19]
	v_add_f64 v[18:19], v[242:243], v[14:15]
	v_add_f64 v[18:19], v[18:19], v[10:11]
	;; [unrolled: 1-line block ×3, first 2 shown]
	v_fma_f64 v[10:11], v[10:11], -0.5, v[242:243]
	v_fma_f64 v[26:27], v[8:9], s[12:13], v[10:11]
	v_fma_f64 v[186:187], v[8:9], s[4:5], v[10:11]
	v_add_f64 v[8:9], v[244:245], v[250:251]
	v_add_f64 v[10:11], v[252:253], -v[6:7]
	s_waitcnt vmcnt(0)
	ds_write_b128 v0, v[16:19]
	ds_write_b128 v0, v[24:27] offset:16
	ds_write_b128 v0, v[184:187] offset:32
	v_add_f64 v[240:241], v[8:9], v[4:5]
	v_add_f64 v[8:9], v[250:251], v[4:5]
	buffer_load_dword v0, off, s[28:31], 0 offset:296 ; 4-byte Folded Reload
	v_add_f64 v[4:5], v[250:251], -v[4:5]
	v_fma_f64 v[8:9], v[8:9], -0.5, v[244:245]
	v_fma_f64 v[248:249], v[10:11], s[4:5], v[8:9]
	v_fma_f64 v[244:245], v[10:11], s[12:13], v[8:9]
	v_add_f64 v[8:9], v[246:247], v[252:253]
	v_add_f64 v[10:11], v[232:233], -v[236:237]
	v_add_f64 v[242:243], v[8:9], v[6:7]
	v_add_f64 v[6:7], v[252:253], v[6:7]
	v_add_f64 v[8:9], v[234:235], -v[238:239]
	v_fma_f64 v[6:7], v[6:7], -0.5, v[246:247]
	v_fma_f64 v[250:251], v[4:5], s[12:13], v[6:7]
	v_fma_f64 v[246:247], v[4:5], s[4:5], v[6:7]
	v_add_f64 v[4:5], v[228:229], v[232:233]
	s_waitcnt vmcnt(0)
	ds_write_b128 v0, v[240:243]
	ds_write_b128 v0, v[248:251] offset:16
	ds_write_b128 v0, v[244:247] offset:32
	v_add_f64 v[252:253], v[4:5], v[236:237]
	v_add_f64 v[4:5], v[232:233], v[236:237]
	v_fma_f64 v[6:7], v[4:5], -0.5, v[228:229]
	v_fma_f64 v[4:5], v[8:9], s[4:5], v[6:7]
	v_fma_f64 v[228:229], v[8:9], s[12:13], v[6:7]
	v_add_f64 v[6:7], v[230:231], v[234:235]
	v_add_f64 v[254:255], v[6:7], v[238:239]
	;; [unrolled: 1-line block ×3, first 2 shown]
	v_fma_f64 v[8:9], v[6:7], -0.5, v[230:231]
	v_fma_f64 v[6:7], v[10:11], s[12:13], v[8:9]
	v_fma_f64 v[230:231], v[10:11], s[4:5], v[8:9]
	s_and_saveexec_b64 s[4:5], s[0:1]
	s_cbranch_execz .LBB0_21
; %bb.20:
	buffer_load_dword v0, off, s[28:31], 0 offset:344 ; 4-byte Folded Reload
	s_waitcnt vmcnt(0)
	v_lshlrev_b32_e32 v0, 4, v0
	ds_write_b128 v0, v[252:255]
	ds_write_b128 v0, v[4:7] offset:16
	ds_write_b128 v0, v[228:231] offset:32
.LBB0_21:
	s_or_b64 exec, exec, s[4:5]
	s_waitcnt lgkmcnt(0)
	; wave barrier
	s_waitcnt lgkmcnt(0)
	ds_read_b128 v[8:11], v52
	ds_read_b128 v[0:3], v52 offset:864
	ds_read_b128 v[48:51], v52 offset:2304
	;; [unrolled: 1-line block ×11, first 2 shown]
	s_and_saveexec_b64 s[4:5], s[2:3]
	s_cbranch_execz .LBB0_23
; %bb.22:
	ds_read_b128 v[240:243], v52 offset:1728
	ds_read_b128 v[248:251], v52 offset:4032
	;; [unrolled: 1-line block ×6, first 2 shown]
.LBB0_23:
	s_or_b64 exec, exec, s[4:5]
	buffer_load_dword v57, off, s[28:31], 0 offset:300 ; 4-byte Folded Reload
	buffer_load_dword v58, off, s[28:31], 0 offset:304 ; 4-byte Folded Reload
	;; [unrolled: 1-line block ×4, first 2 shown]
	s_waitcnt lgkmcnt(9)
	v_mul_f64 v[54:55], v[78:79], v[50:51]
	s_mov_b32 s12, 0xe8584caa
	s_mov_b32 s13, 0xbfebb67a
	;; [unrolled: 1-line block ×4, first 2 shown]
	v_fma_f64 v[54:55], v[76:77], v[48:49], v[54:55]
	v_mul_f64 v[48:49], v[78:79], v[48:49]
	v_fma_f64 v[48:49], v[76:77], v[50:51], -v[48:49]
	s_waitcnt lgkmcnt(7)
	v_mul_f64 v[50:51], v[74:75], v[46:47]
	v_fma_f64 v[50:51], v[72:73], v[44:45], v[50:51]
	v_mul_f64 v[44:45], v[74:75], v[44:45]
	v_fma_f64 v[44:45], v[72:73], v[46:47], -v[44:45]
	s_waitcnt vmcnt(0) lgkmcnt(5)
	v_mul_f64 v[46:47], v[59:60], v[42:43]
	v_fma_f64 v[46:47], v[57:58], v[40:41], v[46:47]
	v_mul_f64 v[40:41], v[59:60], v[40:41]
	v_fma_f64 v[40:41], v[57:58], v[42:43], -v[40:41]
	buffer_load_dword v57, off, s[28:31], 0 offset:268 ; 4-byte Folded Reload
	buffer_load_dword v58, off, s[28:31], 0 offset:272 ; 4-byte Folded Reload
	;; [unrolled: 1-line block ×4, first 2 shown]
	s_waitcnt lgkmcnt(0)
	; wave barrier
	s_waitcnt vmcnt(0) lgkmcnt(0)
	v_mul_f64 v[42:43], v[59:60], v[38:39]
	v_fma_f64 v[42:43], v[57:58], v[36:37], v[42:43]
	v_mul_f64 v[36:37], v[59:60], v[36:37]
	v_fma_f64 v[36:37], v[57:58], v[38:39], -v[36:37]
	v_mul_f64 v[38:39], v[70:71], v[34:35]
	v_fma_f64 v[38:39], v[68:69], v[32:33], v[38:39]
	v_mul_f64 v[32:33], v[70:71], v[32:33]
	v_fma_f64 v[32:33], v[68:69], v[34:35], -v[32:33]
	v_mul_f64 v[34:35], v[98:99], v[30:31]
	v_add_f64 v[69:70], v[50:51], v[42:43]
	v_add_f64 v[67:68], v[8:9], v[50:51]
	v_fma_f64 v[34:35], v[96:97], v[28:29], v[34:35]
	v_mul_f64 v[28:29], v[98:99], v[28:29]
	v_fma_f64 v[8:9], v[69:70], -0.5, v[8:9]
	v_add_f64 v[69:70], v[44:45], -v[36:37]
	v_add_f64 v[67:68], v[67:68], v[42:43]
	v_fma_f64 v[28:29], v[96:97], v[30:31], -v[28:29]
	v_mul_f64 v[30:31], v[94:95], v[26:27]
	v_fma_f64 v[71:72], v[69:70], s[12:13], v[8:9]
	v_fma_f64 v[8:9], v[69:70], s[4:5], v[8:9]
	v_add_f64 v[69:70], v[10:11], v[44:45]
	v_fma_f64 v[30:31], v[92:93], v[24:25], v[30:31]
	v_mul_f64 v[24:25], v[94:95], v[24:25]
	v_add_f64 v[74:75], v[69:70], v[36:37]
	v_add_f64 v[36:37], v[44:45], v[36:37]
	v_fma_f64 v[57:58], v[92:93], v[26:27], -v[24:25]
	v_mul_f64 v[24:25], v[86:87], v[22:23]
	v_mul_f64 v[26:27], v[118:119], v[228:229]
	v_fma_f64 v[10:11], v[36:37], -0.5, v[10:11]
	v_add_f64 v[36:37], v[50:51], -v[42:43]
	v_add_f64 v[42:43], v[40:41], -v[32:33]
	v_fma_f64 v[59:60], v[84:85], v[20:21], v[24:25]
	v_mul_f64 v[20:21], v[86:87], v[20:21]
	v_fma_f64 v[26:27], v[116:117], v[230:231], -v[26:27]
	v_fma_f64 v[61:62], v[84:85], v[22:23], -v[20:21]
	v_mul_f64 v[20:21], v[82:83], v[18:19]
	v_mul_f64 v[22:23], v[106:107], v[252:253]
	v_fma_f64 v[63:64], v[80:81], v[16:17], v[20:21]
	v_mul_f64 v[16:17], v[82:83], v[16:17]
	v_fma_f64 v[24:25], v[104:105], v[254:255], -v[22:23]
	v_mul_f64 v[22:23], v[102:103], v[6:7]
	v_fma_f64 v[65:66], v[80:81], v[18:19], -v[16:17]
	v_fma_f64 v[80:81], v[36:37], s[4:5], v[10:11]
	v_fma_f64 v[10:11], v[36:37], s[12:13], v[10:11]
	v_add_f64 v[36:37], v[54:55], v[46:47]
	v_mul_f64 v[16:17], v[90:91], v[14:15]
	v_mul_f64 v[18:19], v[110:111], v[244:245]
	v_fma_f64 v[22:23], v[100:101], v[4:5], v[22:23]
	v_mul_f64 v[4:5], v[102:103], v[4:5]
	v_add_f64 v[50:51], v[36:37], v[38:39]
	v_add_f64 v[36:37], v[46:47], v[38:39]
	v_fma_f64 v[76:77], v[88:89], v[12:13], v[16:17]
	v_mul_f64 v[12:13], v[90:91], v[12:13]
	v_mul_f64 v[16:17], v[110:111], v[246:247]
	v_fma_f64 v[20:21], v[108:109], v[246:247], -v[18:19]
	v_fma_f64 v[4:5], v[100:101], v[6:7], -v[4:5]
	v_mul_f64 v[18:19], v[106:107], v[254:255]
	v_mul_f64 v[6:7], v[118:119], v[230:231]
	v_fma_f64 v[36:37], v[36:37], -0.5, v[54:55]
	v_fma_f64 v[78:79], v[88:89], v[14:15], -v[12:13]
	v_fma_f64 v[16:17], v[108:109], v[244:245], v[16:17]
	v_mul_f64 v[12:13], v[114:115], v[250:251]
	v_mul_f64 v[14:15], v[114:115], v[248:249]
	v_fma_f64 v[18:19], v[104:105], v[252:253], v[18:19]
	v_fma_f64 v[6:7], v[116:117], v[228:229], v[6:7]
	;; [unrolled: 1-line block ×4, first 2 shown]
	v_add_f64 v[36:37], v[48:49], v[40:41]
	v_fma_f64 v[12:13], v[112:113], v[248:249], v[12:13]
	v_fma_f64 v[14:15], v[112:113], v[250:251], -v[14:15]
	v_add_f64 v[82:83], v[36:37], v[32:33]
	v_add_f64 v[32:33], v[40:41], v[32:33]
	v_add_f64 v[36:37], v[46:47], -v[38:39]
	v_fma_f64 v[32:33], v[32:33], -0.5, v[48:49]
	v_add_f64 v[48:49], v[67:68], -v[50:51]
	v_fma_f64 v[42:43], v[36:37], s[4:5], v[32:33]
	v_fma_f64 v[32:33], v[36:37], s[12:13], v[32:33]
	v_add_f64 v[36:37], v[67:68], v[50:51]
	v_add_f64 v[50:51], v[74:75], -v[82:83]
	v_mul_f64 v[38:39], v[42:43], s[12:13]
	v_mul_f64 v[42:43], v[42:43], 0.5
	v_fma_f64 v[84:85], v[54:55], 0.5, v[38:39]
	v_mul_f64 v[38:39], v[32:33], s[12:13]
	v_mul_f64 v[32:33], v[32:33], -0.5
	v_fma_f64 v[54:55], v[54:55], s[4:5], v[42:43]
	v_add_f64 v[40:41], v[71:72], v[84:85]
	v_fma_f64 v[86:87], v[69:70], -0.5, v[38:39]
	v_fma_f64 v[32:33], v[69:70], s[4:5], v[32:33]
	v_add_f64 v[38:39], v[74:75], v[82:83]
	v_add_f64 v[42:43], v[80:81], v[54:55]
	v_add_f64 v[68:69], v[71:72], -v[84:85]
	v_add_f64 v[70:71], v[80:81], -v[54:55]
	v_add_f64 v[54:55], v[57:58], v[65:66]
	v_add_f64 v[44:45], v[8:9], v[86:87]
	;; [unrolled: 1-line block ×3, first 2 shown]
	v_add_f64 v[74:75], v[10:11], -v[32:33]
	v_add_f64 v[10:11], v[30:31], v[63:64]
	v_add_f64 v[72:73], v[8:9], -v[86:87]
	v_add_f64 v[8:9], v[0:1], v[30:31]
	v_add_f64 v[30:31], v[30:31], -v[63:64]
	v_fma_f64 v[0:1], v[10:11], -0.5, v[0:1]
	v_add_f64 v[10:11], v[57:58], -v[65:66]
	v_add_f64 v[8:9], v[8:9], v[63:64]
	v_fma_f64 v[32:33], v[10:11], s[12:13], v[0:1]
	v_fma_f64 v[0:1], v[10:11], s[4:5], v[0:1]
	v_add_f64 v[10:11], v[2:3], v[57:58]
	v_fma_f64 v[2:3], v[54:55], -0.5, v[2:3]
	v_add_f64 v[57:58], v[59:60], v[76:77]
	v_add_f64 v[10:11], v[10:11], v[65:66]
	v_fma_f64 v[54:55], v[30:31], s[4:5], v[2:3]
	v_fma_f64 v[2:3], v[30:31], s[12:13], v[2:3]
	v_add_f64 v[30:31], v[34:35], v[59:60]
	v_fma_f64 v[34:35], v[57:58], -0.5, v[34:35]
	v_add_f64 v[57:58], v[61:62], -v[78:79]
	v_add_f64 v[59:60], v[59:60], -v[76:77]
	v_add_f64 v[30:31], v[30:31], v[76:77]
	v_fma_f64 v[63:64], v[57:58], s[12:13], v[34:35]
	v_fma_f64 v[34:35], v[57:58], s[4:5], v[34:35]
	v_add_f64 v[57:58], v[28:29], v[61:62]
	v_add_f64 v[61:62], v[61:62], v[78:79]
	;; [unrolled: 1-line block ×3, first 2 shown]
	v_add_f64 v[88:89], v[8:9], -v[30:31]
	v_add_f64 v[8:9], v[20:21], -v[4:5]
	;; [unrolled: 1-line block ×3, first 2 shown]
	v_add_f64 v[57:58], v[57:58], v[78:79]
	v_fma_f64 v[28:29], v[61:62], -0.5, v[28:29]
	v_add_f64 v[78:79], v[10:11], v[57:58]
	v_fma_f64 v[61:62], v[59:60], s[4:5], v[28:29]
	v_fma_f64 v[28:29], v[59:60], s[12:13], v[28:29]
	v_add_f64 v[90:91], v[10:11], -v[57:58]
	v_mul_f64 v[59:60], v[61:62], s[12:13]
	v_mul_f64 v[65:66], v[28:29], s[12:13]
	v_mul_f64 v[28:29], v[28:29], -0.5
	v_mul_f64 v[61:62], v[61:62], 0.5
	v_fma_f64 v[59:60], v[63:64], 0.5, v[59:60]
	v_fma_f64 v[65:66], v[34:35], -0.5, v[65:66]
	v_fma_f64 v[28:29], v[34:35], s[4:5], v[28:29]
	v_fma_f64 v[61:62], v[63:64], s[4:5], v[61:62]
	v_add_f64 v[80:81], v[32:33], v[59:60]
	v_add_f64 v[84:85], v[0:1], v[65:66]
	v_add_f64 v[96:97], v[0:1], -v[65:66]
	v_add_f64 v[0:1], v[22:23], v[16:17]
	v_add_f64 v[86:87], v[2:3], v[28:29]
	v_add_f64 v[98:99], v[2:3], -v[28:29]
	v_add_f64 v[28:29], v[16:17], -v[22:23]
	;; [unrolled: 1-line block ×3, first 2 shown]
	v_add_f64 v[82:83], v[54:55], v[61:62]
	v_add_f64 v[94:95], v[54:55], -v[61:62]
	v_fma_f64 v[2:3], v[0:1], -0.5, v[240:241]
	v_fma_f64 v[0:1], v[8:9], s[12:13], v[2:3]
	v_fma_f64 v[2:3], v[8:9], s[4:5], v[2:3]
	v_add_f64 v[8:9], v[4:5], v[20:21]
	v_fma_f64 v[10:11], v[8:9], -0.5, v[242:243]
	v_fma_f64 v[8:9], v[28:29], s[4:5], v[10:11]
	v_fma_f64 v[10:11], v[28:29], s[12:13], v[10:11]
	v_add_f64 v[28:29], v[18:19], v[6:7]
	;; [unrolled: 4-line block ×3, first 2 shown]
	v_add_f64 v[30:31], v[18:19], -v[6:7]
	v_fma_f64 v[28:29], v[28:29], -0.5, v[14:15]
	v_fma_f64 v[54:55], v[30:31], s[4:5], v[28:29]
	v_fma_f64 v[57:58], v[30:31], s[12:13], v[28:29]
	v_mul_f64 v[28:29], v[54:55], s[12:13]
	v_mul_f64 v[54:55], v[54:55], 0.5
	v_mul_f64 v[30:31], v[57:58], s[12:13]
	v_fma_f64 v[28:29], v[32:33], 0.5, v[28:29]
	v_fma_f64 v[32:33], v[32:33], s[4:5], v[54:55]
	v_mul_f64 v[54:55], v[57:58], -0.5
	v_fma_f64 v[30:31], v[34:35], -0.5, v[30:31]
	v_add_f64 v[60:61], v[0:1], -v[28:29]
	v_add_f64 v[62:63], v[8:9], -v[32:33]
	v_fma_f64 v[34:35], v[34:35], s[4:5], v[54:55]
	buffer_load_dword v54, off, s[28:31], 0 offset:320 ; 4-byte Folded Reload
	v_add_f64 v[64:65], v[2:3], -v[30:31]
	s_waitcnt vmcnt(0)
	ds_write_b128 v54, v[36:39]
	ds_write_b128 v54, v[40:43] offset:48
	ds_write_b128 v54, v[44:47] offset:96
	;; [unrolled: 1-line block ×5, first 2 shown]
	ds_write_b128 v53, v[76:79]
	ds_write_b128 v53, v[80:83] offset:48
	ds_write_b128 v53, v[84:87] offset:96
	;; [unrolled: 1-line block ×5, first 2 shown]
	v_add_f64 v[66:67], v[10:11], -v[34:35]
	s_and_saveexec_b64 s[4:5], s[2:3]
	s_cbranch_execz .LBB0_25
; %bb.24:
	v_add_f64 v[20:21], v[20:21], v[242:243]
	v_add_f64 v[16:17], v[16:17], v[240:241]
	;; [unrolled: 1-line block ×10, first 2 shown]
	buffer_load_dword v0, off, s[28:31], 0 offset:264 ; 4-byte Folded Reload
	buffer_load_dword v1, off, s[28:31], 0 offset:316 ; 4-byte Folded Reload
	v_add_f64 v[14:15], v[26:27], v[14:15]
	v_add_f64 v[4:5], v[10:11], v[34:35]
	v_add_f64 v[10:11], v[20:21], -v[22:23]
	v_add_f64 v[12:13], v[18:19], -v[14:15]
	v_add_f64 v[16:17], v[18:19], v[14:15]
	v_add_f64 v[14:15], v[20:21], v[22:23]
	s_waitcnt vmcnt(0)
	v_add_lshl_u32 v0, v1, v0, 4
	ds_write_b128 v0, v[60:63] offset:192
	ds_write_b128 v0, v[6:9] offset:48
	;; [unrolled: 1-line block ×3, first 2 shown]
	ds_write_b128 v0, v[14:17]
	ds_write_b128 v0, v[10:13] offset:144
	ds_write_b128 v0, v[64:67] offset:240
.LBB0_25:
	s_or_b64 exec, exec, s[4:5]
	s_waitcnt lgkmcnt(0)
	; wave barrier
	s_waitcnt lgkmcnt(0)
	ds_read_b128 v[0:3], v52
	ds_read_b128 v[4:7], v52 offset:864
	ds_read_b128 v[8:11], v52 offset:1728
	;; [unrolled: 1-line block ×13, first 2 shown]
	s_waitcnt lgkmcnt(12)
	v_mul_f64 v[53:54], v[146:147], v[6:7]
	v_mul_f64 v[57:58], v[146:147], v[4:5]
	s_waitcnt lgkmcnt(11)
	v_mul_f64 v[80:81], v[130:131], v[10:11]
	v_mul_f64 v[82:83], v[130:131], v[8:9]
	;; [unrolled: 3-line block ×3, first 2 shown]
	ds_read_b128 v[72:75], v52 offset:12096
	ds_read_b128 v[76:79], v52 offset:12960
	s_waitcnt lgkmcnt(8)
	v_mul_f64 v[88:89], v[138:139], v[30:31]
	v_fma_f64 v[4:5], v[144:145], v[4:5], v[53:54]
	v_fma_f64 v[6:7], v[144:145], v[6:7], -v[57:58]
	v_fma_f64 v[8:9], v[128:129], v[8:9], v[80:81]
	v_fma_f64 v[10:11], v[128:129], v[10:11], -v[82:83]
	v_fma_f64 v[12:13], v[124:125], v[12:13], v[84:85]
	v_fma_f64 v[14:15], v[124:125], v[14:15], -v[86:87]
	v_mul_f64 v[53:54], v[122:123], v[18:19]
	v_mul_f64 v[57:58], v[122:123], v[16:17]
	;; [unrolled: 1-line block ×7, first 2 shown]
	v_fma_f64 v[28:29], v[136:137], v[28:29], v[88:89]
	v_fma_f64 v[16:17], v[120:121], v[16:17], v[53:54]
	v_fma_f64 v[18:19], v[120:121], v[18:19], -v[57:58]
	v_fma_f64 v[20:21], v[160:161], v[20:21], v[80:81]
	v_fma_f64 v[22:23], v[160:161], v[22:23], -v[82:83]
	;; [unrolled: 2-line block ×3, first 2 shown]
	s_waitcnt lgkmcnt(7)
	v_mul_f64 v[53:54], v[134:135], v[34:35]
	v_mul_f64 v[57:58], v[134:135], v[32:33]
	s_waitcnt lgkmcnt(6)
	v_mul_f64 v[80:81], v[174:175], v[38:39]
	v_mul_f64 v[82:83], v[174:175], v[36:37]
	;; [unrolled: 3-line block ×3, first 2 shown]
	v_fma_f64 v[30:31], v[136:137], v[30:31], -v[90:91]
	s_waitcnt lgkmcnt(4)
	v_mul_f64 v[88:89], v[154:155], v[46:47]
	v_fma_f64 v[32:33], v[132:133], v[32:33], v[53:54]
	v_fma_f64 v[34:35], v[132:133], v[34:35], -v[57:58]
	v_fma_f64 v[36:37], v[172:173], v[36:37], v[80:81]
	v_fma_f64 v[38:39], v[172:173], v[38:39], -v[82:83]
	v_fma_f64 v[40:41], v[156:157], v[40:41], v[84:85]
	v_fma_f64 v[42:43], v[156:157], v[42:43], -v[86:87]
	s_waitcnt lgkmcnt(3)
	v_mul_f64 v[53:54], v[150:151], v[50:51]
	v_mul_f64 v[57:58], v[150:151], v[48:49]
	s_waitcnt lgkmcnt(2)
	v_mul_f64 v[80:81], v[178:179], v[70:71]
	v_mul_f64 v[82:83], v[178:179], v[68:69]
	;; [unrolled: 3-line block ×3, first 2 shown]
	v_mul_f64 v[90:91], v[154:155], v[44:45]
	v_fma_f64 v[44:45], v[152:153], v[44:45], v[88:89]
	v_fma_f64 v[48:49], v[148:149], v[48:49], v[53:54]
	v_fma_f64 v[50:51], v[148:149], v[50:51], -v[57:58]
	v_fma_f64 v[53:54], v[176:177], v[68:69], v[80:81]
	v_fma_f64 v[57:58], v[176:177], v[70:71], -v[82:83]
	;; [unrolled: 2-line block ×3, first 2 shown]
	v_fma_f64 v[46:47], v[152:153], v[46:47], -v[90:91]
	s_waitcnt lgkmcnt(0)
	v_mul_f64 v[88:89], v[166:167], v[78:79]
	v_mul_f64 v[90:91], v[166:167], v[76:77]
	v_add_f64 v[32:33], v[0:1], -v[32:33]
	v_add_f64 v[34:35], v[2:3], -v[34:35]
	;; [unrolled: 1-line block ×8, first 2 shown]
	v_fma_f64 v[72:73], v[164:165], v[76:77], v[88:89]
	v_fma_f64 v[74:75], v[164:165], v[78:79], -v[90:91]
	v_fma_f64 v[0:1], v[0:1], 2.0, -v[32:33]
	v_fma_f64 v[2:3], v[2:3], 2.0, -v[34:35]
	;; [unrolled: 1-line block ×8, first 2 shown]
	v_add_f64 v[50:51], v[32:33], v[50:51]
	v_add_f64 v[48:49], v[34:35], -v[48:49]
	v_add_f64 v[70:71], v[40:41], v[70:71]
	v_add_f64 v[68:69], v[42:43], -v[68:69]
	v_add_f64 v[36:37], v[4:5], -v[36:37]
	;; [unrolled: 1-line block ×13, first 2 shown]
	v_fma_f64 v[32:33], v[32:33], 2.0, -v[50:51]
	v_fma_f64 v[34:35], v[34:35], 2.0, -v[48:49]
	;; [unrolled: 1-line block ×4, first 2 shown]
	s_mov_b32 s2, 0x667f3bcd
	s_mov_b32 s3, 0xbfe6a09e
	v_fma_f64 v[4:5], v[4:5], 2.0, -v[36:37]
	v_fma_f64 v[6:7], v[6:7], 2.0, -v[38:39]
	;; [unrolled: 1-line block ×12, first 2 shown]
	v_add_f64 v[57:58], v[36:37], v[57:58]
	v_add_f64 v[53:54], v[38:39], -v[53:54]
	v_add_f64 v[74:75], v[44:45], v[74:75]
	v_add_f64 v[72:73], v[46:47], -v[72:73]
	v_fma_f64 v[76:77], v[40:41], s[2:3], v[32:33]
	v_fma_f64 v[78:79], v[42:43], s[2:3], v[34:35]
	s_mov_b32 s5, 0x3fe6a09e
	s_mov_b32 s4, s2
	v_add_f64 v[20:21], v[4:5], -v[20:21]
	v_add_f64 v[22:23], v[6:7], -v[22:23]
	;; [unrolled: 1-line block ×4, first 2 shown]
	v_fma_f64 v[36:37], v[36:37], 2.0, -v[57:58]
	v_fma_f64 v[38:39], v[38:39], 2.0, -v[53:54]
	;; [unrolled: 1-line block ×4, first 2 shown]
	v_add_f64 v[80:81], v[0:1], -v[8:9]
	v_add_f64 v[82:83], v[2:3], -v[10:11]
	v_fma_f64 v[8:9], v[70:71], s[4:5], v[50:51]
	v_fma_f64 v[10:11], v[68:69], s[4:5], v[48:49]
	;; [unrolled: 1-line block ×4, first 2 shown]
	v_add_f64 v[84:85], v[16:17], v[26:27]
	v_add_f64 v[86:87], v[18:19], -v[24:25]
	v_fma_f64 v[4:5], v[4:5], 2.0, -v[20:21]
	v_fma_f64 v[6:7], v[6:7], 2.0, -v[22:23]
	;; [unrolled: 1-line block ×4, first 2 shown]
	v_fma_f64 v[88:89], v[68:69], s[4:5], v[8:9]
	v_fma_f64 v[90:91], v[70:71], s[2:3], v[10:11]
	v_fma_f64 v[24:25], v[32:33], 2.0, -v[76:77]
	v_fma_f64 v[26:27], v[34:35], 2.0, -v[78:79]
	;; [unrolled: 1-line block ×4, first 2 shown]
	v_fma_f64 v[8:9], v[44:45], s[2:3], v[36:37]
	v_fma_f64 v[10:11], v[46:47], s[2:3], v[38:39]
	;; [unrolled: 1-line block ×4, first 2 shown]
	v_fma_f64 v[40:41], v[50:51], 2.0, -v[88:89]
	v_fma_f64 v[42:43], v[48:49], 2.0, -v[90:91]
	v_add_f64 v[48:49], v[4:5], -v[12:13]
	v_add_f64 v[50:51], v[6:7], -v[14:15]
	v_fma_f64 v[46:47], v[46:47], s[4:5], v[8:9]
	v_fma_f64 v[44:45], v[44:45], s[2:3], v[10:11]
	v_add_f64 v[68:69], v[20:21], v[30:31]
	v_add_f64 v[70:71], v[22:23], -v[28:29]
	v_fma_f64 v[72:73], v[72:73], s[4:5], v[16:17]
	v_fma_f64 v[74:75], v[74:75], s[2:3], v[18:19]
	v_fma_f64 v[0:1], v[0:1], 2.0, -v[80:81]
	v_fma_f64 v[2:3], v[2:3], 2.0, -v[82:83]
	;; [unrolled: 1-line block ×10, first 2 shown]
	s_mov_b32 s12, 0xcf328d46
	s_mov_b32 s14, 0xa6aea964
	;; [unrolled: 1-line block ×6, first 2 shown]
	v_add_f64 v[4:5], v[0:1], -v[4:5]
	v_add_f64 v[6:7], v[2:3], -v[6:7]
	v_fma_f64 v[20:21], v[10:11], s[12:13], v[24:25]
	v_fma_f64 v[22:23], v[8:9], s[12:13], v[26:27]
	;; [unrolled: 1-line block ×6, first 2 shown]
	s_mov_b32 s19, 0x3fed906b
	s_mov_b32 s18, s12
	v_fma_f64 v[8:9], v[8:9], s[14:15], v[20:21]
	v_fma_f64 v[10:11], v[10:11], s[16:17], v[22:23]
	;; [unrolled: 1-line block ×6, first 2 shown]
	v_fma_f64 v[20:21], v[0:1], 2.0, -v[4:5]
	v_fma_f64 v[22:23], v[2:3], 2.0, -v[6:7]
	v_fma_f64 v[0:1], v[46:47], s[14:15], v[76:77]
	v_fma_f64 v[2:3], v[44:45], s[14:15], v[78:79]
	;; [unrolled: 1-line block ×6, first 2 shown]
	v_add_f64 v[36:37], v[80:81], v[50:51]
	v_add_f64 v[38:39], v[82:83], -v[48:49]
	v_fma_f64 v[28:29], v[32:33], 2.0, -v[12:13]
	v_fma_f64 v[30:31], v[34:35], 2.0, -v[14:15]
	v_fma_f64 v[32:33], v[40:41], 2.0, -v[16:17]
	v_fma_f64 v[34:35], v[42:43], 2.0, -v[18:19]
	v_fma_f64 v[40:41], v[44:45], s[18:19], v[0:1]
	v_fma_f64 v[42:43], v[46:47], s[12:13], v[2:3]
	;; [unrolled: 1-line block ×6, first 2 shown]
	v_fma_f64 v[24:25], v[24:25], 2.0, -v[8:9]
	v_fma_f64 v[26:27], v[26:27], 2.0, -v[10:11]
	;; [unrolled: 1-line block ×10, first 2 shown]
	s_waitcnt lgkmcnt(0)
	; wave barrier
	ds_write_b128 v56, v[20:23]
	ds_write_b128 v56, v[24:27] offset:288
	ds_write_b128 v56, v[28:31] offset:576
	ds_write_b128 v56, v[32:35] offset:864
	ds_write_b128 v56, v[48:51] offset:1152
	ds_write_b128 v56, v[68:71] offset:1440
	ds_write_b128 v56, v[72:75] offset:1728
	ds_write_b128 v56, v[76:79] offset:2016
	ds_write_b128 v56, v[4:7] offset:2304
	ds_write_b128 v56, v[8:11] offset:2592
	ds_write_b128 v56, v[12:15] offset:2880
	ds_write_b128 v56, v[16:19] offset:3168
	ds_write_b128 v56, v[36:39] offset:3456
	ds_write_b128 v56, v[40:43] offset:3744
	ds_write_b128 v56, v[44:47] offset:4032
	ds_write_b128 v56, v[0:3] offset:4320
	s_waitcnt lgkmcnt(0)
	; wave barrier
	s_waitcnt lgkmcnt(0)
	ds_read_b128 v[20:23], v52
	ds_read_b128 v[16:19], v52 offset:864
	ds_read_b128 v[72:75], v52 offset:9216
	;; [unrolled: 1-line block ×14, first 2 shown]
	s_and_saveexec_b64 s[2:3], s[0:1]
	s_cbranch_execz .LBB0_27
; %bb.26:
	ds_read_b128 v[0:3], v52 offset:4320
	ds_read_b128 v[60:63], v52 offset:8928
	ds_read_b128 v[64:67], v52 offset:13536
.LBB0_27:
	s_or_b64 exec, exec, s[2:3]
	s_waitcnt lgkmcnt(12)
	v_mul_f64 v[57:58], v[194:195], v[74:75]
	v_mul_f64 v[80:81], v[194:195], v[72:73]
	s_waitcnt lgkmcnt(4)
	v_mul_f64 v[53:54], v[190:191], v[78:79]
	v_mul_f64 v[55:56], v[190:191], v[76:77]
	;; [unrolled: 1-line block ×5, first 2 shown]
	s_mov_b32 s2, 0xe8584caa
	v_fma_f64 v[57:58], v[192:193], v[72:73], v[57:58]
	v_fma_f64 v[72:73], v[192:193], v[74:75], -v[80:81]
	v_mul_f64 v[74:75], v[198:199], v[44:45]
	v_fma_f64 v[53:54], v[188:189], v[76:77], v[53:54]
	v_fma_f64 v[55:56], v[188:189], v[78:79], -v[55:56]
	v_fma_f64 v[70:71], v[200:201], v[70:71], -v[84:85]
	v_mul_f64 v[76:77], v[206:207], v[38:39]
	v_mul_f64 v[78:79], v[206:207], v[36:37]
	;; [unrolled: 1-line block ×3, first 2 shown]
	s_waitcnt lgkmcnt(2)
	v_mul_f64 v[84:85], v[218:219], v[50:51]
	v_fma_f64 v[46:47], v[196:197], v[46:47], -v[74:75]
	v_mul_f64 v[74:75], v[218:219], v[48:49]
	v_fma_f64 v[68:69], v[200:201], v[68:69], v[82:83]
	v_mul_f64 v[82:83], v[210:211], v[40:41]
	v_fma_f64 v[76:77], v[204:205], v[36:37], v[76:77]
	v_fma_f64 v[78:79], v[204:205], v[38:39], -v[78:79]
	v_mul_f64 v[36:37], v[214:215], v[34:35]
	v_fma_f64 v[40:41], v[208:209], v[40:41], v[80:81]
	v_fma_f64 v[80:81], v[216:217], v[48:49], v[84:85]
	v_mul_f64 v[38:39], v[214:215], v[32:33]
	v_fma_f64 v[50:51], v[216:217], v[50:51], -v[74:75]
	s_waitcnt lgkmcnt(1)
	v_mul_f64 v[48:49], v[222:223], v[30:31]
	v_add_f64 v[74:75], v[53:54], v[57:58]
	s_waitcnt lgkmcnt(0)
	v_mul_f64 v[84:85], v[226:227], v[24:25]
	v_fma_f64 v[44:45], v[196:197], v[44:45], v[86:87]
	v_fma_f64 v[42:43], v[208:209], v[42:43], -v[82:83]
	v_fma_f64 v[82:83], v[212:213], v[32:33], v[36:37]
	v_mul_f64 v[32:33], v[222:223], v[28:29]
	v_mul_f64 v[36:37], v[226:227], v[26:27]
	v_fma_f64 v[86:87], v[212:213], v[34:35], -v[38:39]
	v_add_f64 v[34:35], v[20:21], v[53:54]
	v_fma_f64 v[88:89], v[220:221], v[28:29], v[48:49]
	v_fma_f64 v[28:29], v[74:75], -0.5, v[20:21]
	v_add_f64 v[38:39], v[55:56], -v[72:73]
	v_fma_f64 v[84:85], v[224:225], v[26:27], -v[84:85]
	v_add_f64 v[26:27], v[55:56], v[72:73]
	s_mov_b32 s3, 0xbfebb67a
	s_mov_b32 s5, 0x3febb67a
	;; [unrolled: 1-line block ×3, first 2 shown]
	v_fma_f64 v[74:75], v[220:221], v[30:31], -v[32:33]
	v_fma_f64 v[90:91], v[224:225], v[24:25], v[36:37]
	v_add_f64 v[20:21], v[34:35], v[57:58]
	v_fma_f64 v[24:25], v[38:39], s[2:3], v[28:29]
	v_add_f64 v[30:31], v[22:23], v[55:56]
	v_add_f64 v[32:33], v[68:69], v[44:45]
	v_fma_f64 v[34:35], v[26:27], -0.5, v[22:23]
	v_add_f64 v[36:37], v[53:54], -v[57:58]
	v_fma_f64 v[28:29], v[38:39], s[4:5], v[28:29]
	v_add_f64 v[38:39], v[16:17], v[68:69]
	v_add_f64 v[48:49], v[70:71], v[46:47]
	;; [unrolled: 1-line block ×4, first 2 shown]
	v_fma_f64 v[53:54], v[32:33], -0.5, v[16:17]
	v_add_f64 v[55:56], v[70:71], -v[46:47]
	v_fma_f64 v[26:27], v[36:37], s[4:5], v[34:35]
	v_fma_f64 v[30:31], v[36:37], s[2:3], v[34:35]
	v_add_f64 v[16:17], v[38:39], v[44:45]
	v_add_f64 v[34:35], v[76:77], v[40:41]
	v_fma_f64 v[38:39], v[48:49], -0.5, v[18:19]
	v_add_f64 v[18:19], v[57:58], v[46:47]
	v_add_f64 v[48:49], v[12:13], v[76:77]
	;; [unrolled: 1-line block ×3, first 2 shown]
	v_add_f64 v[44:45], v[68:69], -v[44:45]
	v_fma_f64 v[32:33], v[55:56], s[2:3], v[53:54]
	v_fma_f64 v[36:37], v[55:56], s[4:5], v[53:54]
	v_add_f64 v[46:47], v[78:79], v[42:43]
	v_fma_f64 v[53:54], v[34:35], -0.5, v[12:13]
	v_add_f64 v[55:56], v[78:79], -v[42:43]
	v_add_f64 v[68:69], v[14:15], v[78:79]
	v_add_f64 v[12:13], v[48:49], v[40:41]
	;; [unrolled: 1-line block ×3, first 2 shown]
	v_fma_f64 v[57:58], v[57:58], -0.5, v[8:9]
	v_add_f64 v[72:73], v[50:51], -v[86:87]
	v_fma_f64 v[34:35], v[44:45], s[4:5], v[38:39]
	v_fma_f64 v[38:39], v[44:45], s[2:3], v[38:39]
	v_fma_f64 v[46:47], v[46:47], -0.5, v[14:15]
	v_add_f64 v[70:71], v[76:77], -v[40:41]
	v_fma_f64 v[40:41], v[55:56], s[2:3], v[53:54]
	v_fma_f64 v[44:45], v[55:56], s[4:5], v[53:54]
	v_add_f64 v[14:15], v[68:69], v[42:43]
	v_add_f64 v[53:54], v[50:51], v[86:87]
	;; [unrolled: 1-line block ×4, first 2 shown]
	v_fma_f64 v[48:49], v[72:73], s[2:3], v[57:58]
	v_fma_f64 v[56:57], v[72:73], s[4:5], v[57:58]
	v_add_f64 v[58:59], v[74:75], v[84:85]
	v_fma_f64 v[42:43], v[70:71], s[4:5], v[46:47]
	v_fma_f64 v[46:47], v[70:71], s[2:3], v[46:47]
	v_add_f64 v[50:51], v[10:11], v[50:51]
	v_fma_f64 v[53:54], v[53:54], -0.5, v[10:11]
	v_add_f64 v[70:71], v[80:81], -v[82:83]
	v_add_f64 v[72:73], v[4:5], v[88:89]
	v_fma_f64 v[76:77], v[68:69], -0.5, v[4:5]
	v_add_f64 v[78:79], v[74:75], -v[84:85]
	;; [unrolled: 3-line block ×3, first 2 shown]
	v_add_f64 v[10:11], v[50:51], v[86:87]
	v_fma_f64 v[50:51], v[70:71], s[4:5], v[53:54]
	v_fma_f64 v[58:59], v[70:71], s[2:3], v[53:54]
	v_add_f64 v[4:5], v[72:73], v[90:91]
	v_fma_f64 v[68:69], v[78:79], s[2:3], v[76:77]
	v_fma_f64 v[72:73], v[78:79], s[4:5], v[76:77]
	;; [unrolled: 3-line block ×3, first 2 shown]
	ds_write_b128 v52, v[20:23]
	ds_write_b128 v52, v[24:27] offset:4608
	ds_write_b128 v52, v[28:31] offset:9216
	;; [unrolled: 1-line block ×14, first 2 shown]
	s_and_saveexec_b64 s[12:13], s[0:1]
	s_cbranch_execz .LBB0_29
; %bb.28:
	buffer_load_dword v12, off, s[28:31], 0 offset:328 ; 4-byte Folded Reload
	buffer_load_dword v13, off, s[28:31], 0 offset:332 ; 4-byte Folded Reload
	;; [unrolled: 1-line block ×8, first 2 shown]
	s_waitcnt vmcnt(4)
	v_mul_f64 v[4:5], v[14:15], v[60:61]
	s_waitcnt vmcnt(0)
	v_mul_f64 v[6:7], v[18:19], v[64:65]
	v_mul_f64 v[8:9], v[14:15], v[62:63]
	;; [unrolled: 1-line block ×3, first 2 shown]
	v_fma_f64 v[4:5], v[12:13], v[62:63], -v[4:5]
	v_fma_f64 v[6:7], v[16:17], v[66:67], -v[6:7]
	v_fma_f64 v[8:9], v[12:13], v[60:61], v[8:9]
	v_fma_f64 v[10:11], v[16:17], v[64:65], v[10:11]
	v_add_f64 v[18:19], v[2:3], v[4:5]
	v_add_f64 v[12:13], v[4:5], v[6:7]
	v_add_f64 v[4:5], v[4:5], -v[6:7]
	v_add_f64 v[14:15], v[8:9], v[10:11]
	v_add_f64 v[16:17], v[8:9], -v[10:11]
	v_add_f64 v[8:9], v[0:1], v[8:9]
	v_fma_f64 v[12:13], v[12:13], -0.5, v[2:3]
	v_add_f64 v[2:3], v[18:19], v[6:7]
	v_fma_f64 v[14:15], v[14:15], -0.5, v[0:1]
	v_add_f64 v[0:1], v[8:9], v[10:11]
	v_fma_f64 v[10:11], v[16:17], s[4:5], v[12:13]
	v_fma_f64 v[6:7], v[16:17], s[2:3], v[12:13]
	;; [unrolled: 1-line block ×4, first 2 shown]
	ds_write_b128 v52, v[0:3] offset:4320
	ds_write_b128 v52, v[8:11] offset:8928
	;; [unrolled: 1-line block ×3, first 2 shown]
.LBB0_29:
	s_or_b64 exec, exec, s[12:13]
	buffer_load_dword v0, off, s[28:31], 0 offset:80 ; 4-byte Folded Reload
	buffer_load_dword v1, off, s[28:31], 0 offset:84 ; 4-byte Folded Reload
	s_waitcnt lgkmcnt(0)
	; wave barrier
	s_waitcnt lgkmcnt(0)
	v_mov_b32_e32 v24, s7
	ds_read_b128 v[4:7], v52 offset:864
	s_waitcnt vmcnt(1)
	v_mov_b32_e32 v11, v0
	s_waitcnt vmcnt(0)
	ds_read_b128 v[0:3], v52
	buffer_load_dword v20, off, s[28:31], 0 offset:248 ; 4-byte Folded Reload
	buffer_load_dword v21, off, s[28:31], 0 offset:252 ; 4-byte Folded Reload
	buffer_load_dword v22, off, s[28:31], 0 offset:256 ; 4-byte Folded Reload
	buffer_load_dword v23, off, s[28:31], 0 offset:260 ; 4-byte Folded Reload
	v_mad_u64_u32 v[16:17], s[2:3], s10, v11, 0
	v_mov_b32_e32 v8, v17
	s_waitcnt vmcnt(0) lgkmcnt(0)
	v_mul_f64 v[9:10], v[22:23], v[2:3]
	v_mad_u64_u32 v[11:12], s[2:3], s11, v11, v[8:9]
	v_mul_f64 v[12:13], v[22:23], v[0:1]
	v_fma_f64 v[8:9], v[20:21], v[0:1], v[9:10]
	buffer_load_dword v1, off, s[28:31], 0  ; 4-byte Folded Reload
	v_mov_b32_e32 v17, v11
	v_lshlrev_b64 v[16:17], 4, v[16:17]
	v_add_co_u32_e32 v32, vcc, s6, v16
	v_fma_f64 v[10:11], v[20:21], v[2:3], -v[12:13]
	v_addc_co_u32_e32 v33, vcc, v24, v17, vcc
	s_waitcnt vmcnt(0)
	v_mad_u64_u32 v[18:19], s[2:3], s8, v1, 0
	s_mov_b32 s2, 0xbda12f68
	s_mov_b32 s3, 0x3f52f684
	v_mov_b32_e32 v0, v19
	v_mad_u64_u32 v[12:13], s[4:5], s9, v1, v[0:1]
	ds_read_b128 v[0:3], v52 offset:4608
	v_mul_f64 v[8:9], v[8:9], s[2:3]
	v_mov_b32_e32 v19, v12
	ds_read_b128 v[12:15], v52 offset:3456
	buffer_load_dword v25, off, s[28:31], 0 offset:64 ; 4-byte Folded Reload
	buffer_load_dword v26, off, s[28:31], 0 offset:68 ; 4-byte Folded Reload
	;; [unrolled: 1-line block ×4, first 2 shown]
	v_mul_f64 v[10:11], v[10:11], s[2:3]
	v_lshlrev_b64 v[16:17], 4, v[18:19]
	s_mul_i32 s4, s9, 0x120
	s_mul_hi_u32 s5, s8, 0x120
	s_add_i32 s5, s5, s4
	s_mul_i32 s4, s8, 0x120
	s_lshl_b64 s[4:5], s[4:5], 4
	v_mov_b32_e32 v34, s5
	s_waitcnt vmcnt(0) lgkmcnt(1)
	v_mul_f64 v[20:21], v[27:28], v[2:3]
	v_mul_f64 v[22:23], v[27:28], v[0:1]
	v_fma_f64 v[0:1], v[25:26], v[0:1], v[20:21]
	v_add_co_u32_e32 v20, vcc, v32, v16
	v_addc_co_u32_e32 v21, vcc, v33, v17, vcc
	global_store_dwordx4 v[20:21], v[8:11], off
	ds_read_b128 v[8:11], v52 offset:9216
	ds_read_b128 v[16:19], v52 offset:10080
	buffer_load_dword v28, off, s[28:31], 0 offset:16 ; 4-byte Folded Reload
	buffer_load_dword v29, off, s[28:31], 0 offset:20 ; 4-byte Folded Reload
	;; [unrolled: 1-line block ×4, first 2 shown]
	v_fma_f64 v[2:3], v[25:26], v[2:3], -v[22:23]
	v_mul_f64 v[0:1], v[0:1], s[2:3]
	v_add_co_u32_e32 v20, vcc, s4, v20
	v_addc_co_u32_e32 v21, vcc, v21, v34, vcc
	v_mul_f64 v[2:3], v[2:3], s[2:3]
	s_waitcnt vmcnt(0) lgkmcnt(1)
	v_mul_f64 v[22:23], v[30:31], v[10:11]
	v_mul_f64 v[24:25], v[30:31], v[8:9]
	buffer_load_dword v30, off, s[28:31], 0 offset:12 ; 4-byte Folded Reload
	buffer_load_dword v35, off, s[28:31], 0 offset:32 ; 4-byte Folded Reload
	buffer_load_dword v36, off, s[28:31], 0 offset:36 ; 4-byte Folded Reload
	buffer_load_dword v37, off, s[28:31], 0 offset:40 ; 4-byte Folded Reload
	buffer_load_dword v38, off, s[28:31], 0 offset:44 ; 4-byte Folded Reload
	v_fma_f64 v[8:9], v[28:29], v[8:9], v[22:23]
	v_fma_f64 v[10:11], v[28:29], v[10:11], -v[24:25]
	global_store_dwordx4 v[20:21], v[0:3], off
	s_waitcnt vmcnt(5)
	v_mad_u64_u32 v[26:27], s[6:7], s8, v30, 0
	s_waitcnt vmcnt(1)
	v_mul_f64 v[23:24], v[37:38], v[6:7]
	v_mul_f64 v[28:29], v[37:38], v[4:5]
	v_mov_b32_e32 v22, v27
	v_mul_f64 v[0:1], v[8:9], s[2:3]
	v_mul_f64 v[2:3], v[10:11], s[2:3]
	v_mad_u64_u32 v[30:31], s[6:7], s9, v30, v[22:23]
	v_fma_f64 v[22:23], v[35:36], v[4:5], v[23:24]
	v_fma_f64 v[24:25], v[35:36], v[6:7], -v[28:29]
	v_mov_b32_e32 v27, v30
	v_lshlrev_b64 v[8:9], 4, v[26:27]
	ds_read_b128 v[4:7], v52 offset:5472
	v_add_co_u32_e32 v26, vcc, v32, v8
	v_addc_co_u32_e32 v27, vcc, v33, v9, vcc
	ds_read_b128 v[8:11], v52 offset:6336
	buffer_load_dword v30, off, s[28:31], 0 offset:48 ; 4-byte Folded Reload
	buffer_load_dword v31, off, s[28:31], 0 offset:52 ; 4-byte Folded Reload
	;; [unrolled: 1-line block ×4, first 2 shown]
	s_waitcnt vmcnt(0) lgkmcnt(1)
	v_mul_f64 v[28:29], v[32:33], v[6:7]
	global_store_dwordx4 v[26:27], v[0:3], off
	v_mul_f64 v[26:27], v[32:33], v[4:5]
	v_mul_f64 v[0:1], v[22:23], s[2:3]
	v_mov_b32_e32 v22, 0xfffff160
	v_mad_u64_u32 v[20:21], s[6:7], s8, v22, v[20:21]
	v_mul_f64 v[2:3], v[24:25], s[2:3]
	v_fma_f64 v[4:5], v[30:31], v[4:5], v[28:29]
	s_mul_i32 s6, s9, 0xfffff160
	v_fma_f64 v[22:23], v[30:31], v[6:7], -v[26:27]
	buffer_load_dword v28, off, s[28:31], 0 offset:200 ; 4-byte Folded Reload
	buffer_load_dword v29, off, s[28:31], 0 offset:204 ; 4-byte Folded Reload
	;; [unrolled: 1-line block ×4, first 2 shown]
	s_sub_i32 s6, s6, s8
	v_add_u32_e32 v21, s6, v21
	s_mul_hi_u32 s7, s8, 0xfffffdf6
	global_store_dwordx4 v[20:21], v[0:3], off
	s_mul_i32 s6, s9, 0xfffffdf6
	v_mul_f64 v[0:1], v[4:5], s[2:3]
	ds_read_b128 v[4:7], v52 offset:1728
	v_mul_f64 v[2:3], v[22:23], s[2:3]
	s_sub_i32 s7, s7, s8
	s_add_i32 s7, s7, s6
	s_mul_i32 s6, s8, 0xfffffdf6
	s_lshl_b64 s[6:7], s[6:7], 4
	s_waitcnt vmcnt(1)
	v_mul_f64 v[24:25], v[30:31], v[18:19]
	v_mul_f64 v[26:27], v[30:31], v[16:17]
	v_add_co_u32_e32 v30, vcc, s4, v20
	v_addc_co_u32_e32 v31, vcc, v21, v34, vcc
	v_fma_f64 v[22:23], v[28:29], v[16:17], v[24:25]
	v_fma_f64 v[24:25], v[28:29], v[18:19], -v[26:27]
	ds_read_b128 v[16:19], v52 offset:2592
	buffer_load_dword v35, off, s[28:31], 0 offset:88 ; 4-byte Folded Reload
	buffer_load_dword v36, off, s[28:31], 0 offset:92 ; 4-byte Folded Reload
	;; [unrolled: 1-line block ×4, first 2 shown]
	v_mul_f64 v[20:21], v[22:23], s[2:3]
	v_mul_f64 v[22:23], v[24:25], s[2:3]
	v_add_co_u32_e32 v24, vcc, s4, v30
	v_addc_co_u32_e32 v25, vcc, v31, v34, vcc
	global_store_dwordx4 v[30:31], v[0:3], off
	v_mov_b32_e32 v30, s7
	global_store_dwordx4 v[24:25], v[20:23], off
	v_add_co_u32_e32 v24, vcc, s6, v24
	v_addc_co_u32_e32 v25, vcc, v25, v30, vcc
	s_waitcnt vmcnt(2) lgkmcnt(1)
	v_mul_f64 v[26:27], v[37:38], v[6:7]
	v_mul_f64 v[28:29], v[37:38], v[4:5]
	v_fma_f64 v[4:5], v[35:36], v[4:5], v[26:27]
	v_fma_f64 v[6:7], v[35:36], v[6:7], -v[28:29]
	buffer_load_dword v26, off, s[28:31], 0 offset:216 ; 4-byte Folded Reload
	buffer_load_dword v27, off, s[28:31], 0 offset:220 ; 4-byte Folded Reload
	;; [unrolled: 1-line block ×4, first 2 shown]
	v_mul_f64 v[0:1], v[4:5], s[2:3]
	v_mul_f64 v[2:3], v[6:7], s[2:3]
	ds_read_b128 v[4:7], v52 offset:10944
	s_waitcnt vmcnt(0)
	v_mul_f64 v[20:21], v[28:29], v[10:11]
	v_mul_f64 v[22:23], v[28:29], v[8:9]
	v_fma_f64 v[20:21], v[26:27], v[8:9], v[20:21]
	v_fma_f64 v[22:23], v[26:27], v[10:11], -v[22:23]
	ds_read_b128 v[8:11], v52 offset:11808
	buffer_load_dword v35, off, s[28:31], 0 offset:104 ; 4-byte Folded Reload
	buffer_load_dword v36, off, s[28:31], 0 offset:108 ; 4-byte Folded Reload
	buffer_load_dword v37, off, s[28:31], 0 offset:112 ; 4-byte Folded Reload
	buffer_load_dword v38, off, s[28:31], 0 offset:116 ; 4-byte Folded Reload
	s_waitcnt vmcnt(0) lgkmcnt(1)
	v_mul_f64 v[26:27], v[37:38], v[6:7]
	v_mul_f64 v[28:29], v[37:38], v[4:5]
	global_store_dwordx4 v[24:25], v[0:3], off
	v_add_co_u32_e32 v24, vcc, s4, v24
	v_mul_f64 v[0:1], v[20:21], s[2:3]
	v_mul_f64 v[2:3], v[22:23], s[2:3]
	v_addc_co_u32_e32 v25, vcc, v25, v34, vcc
	v_fma_f64 v[4:5], v[35:36], v[4:5], v[26:27]
	v_fma_f64 v[20:21], v[35:36], v[6:7], -v[28:29]
	buffer_load_dword v35, off, s[28:31], 0 offset:136 ; 4-byte Folded Reload
	buffer_load_dword v36, off, s[28:31], 0 offset:140 ; 4-byte Folded Reload
	;; [unrolled: 1-line block ×4, first 2 shown]
	s_waitcnt vmcnt(0)
	v_mul_f64 v[22:23], v[37:38], v[18:19]
	v_mul_f64 v[26:27], v[37:38], v[16:17]
	global_store_dwordx4 v[24:25], v[0:3], off
	v_add_co_u32_e32 v24, vcc, s4, v24
	v_mul_f64 v[0:1], v[4:5], s[2:3]
	ds_read_b128 v[4:7], v52 offset:7200
	v_mul_f64 v[2:3], v[20:21], s[2:3]
	v_fma_f64 v[20:21], v[35:36], v[16:17], v[22:23]
	v_fma_f64 v[22:23], v[35:36], v[18:19], -v[26:27]
	ds_read_b128 v[16:19], v52 offset:8064
	buffer_load_dword v35, off, s[28:31], 0 offset:120 ; 4-byte Folded Reload
	buffer_load_dword v36, off, s[28:31], 0 offset:124 ; 4-byte Folded Reload
	;; [unrolled: 1-line block ×4, first 2 shown]
	v_addc_co_u32_e32 v25, vcc, v25, v34, vcc
	global_store_dwordx4 v[24:25], v[0:3], off
	s_nop 0
	v_mul_f64 v[0:1], v[20:21], s[2:3]
	v_mul_f64 v[2:3], v[22:23], s[2:3]
	v_add_co_u32_e32 v24, vcc, s6, v24
	v_addc_co_u32_e32 v25, vcc, v25, v30, vcc
	s_waitcnt vmcnt(1) lgkmcnt(1)
	v_mul_f64 v[26:27], v[37:38], v[6:7]
	v_mul_f64 v[28:29], v[37:38], v[4:5]
	v_fma_f64 v[4:5], v[35:36], v[4:5], v[26:27]
	v_fma_f64 v[6:7], v[35:36], v[6:7], -v[28:29]
	buffer_load_dword v26, off, s[28:31], 0 offset:168 ; 4-byte Folded Reload
	buffer_load_dword v27, off, s[28:31], 0 offset:172 ; 4-byte Folded Reload
	;; [unrolled: 1-line block ×4, first 2 shown]
	s_waitcnt vmcnt(0)
	v_mul_f64 v[20:21], v[28:29], v[10:11]
	v_mul_f64 v[22:23], v[28:29], v[8:9]
	global_store_dwordx4 v[24:25], v[0:3], off
	s_nop 0
	v_mul_f64 v[0:1], v[4:5], s[2:3]
	v_mul_f64 v[2:3], v[6:7], s[2:3]
	v_fma_f64 v[4:5], v[26:27], v[8:9], v[20:21]
	v_fma_f64 v[6:7], v[26:27], v[10:11], -v[22:23]
	buffer_load_dword v26, off, s[28:31], 0 offset:152 ; 4-byte Folded Reload
	buffer_load_dword v27, off, s[28:31], 0 offset:156 ; 4-byte Folded Reload
	;; [unrolled: 1-line block ×4, first 2 shown]
	v_add_co_u32_e32 v20, vcc, s4, v24
	v_addc_co_u32_e32 v21, vcc, v25, v34, vcc
	global_store_dwordx4 v[20:21], v[0:3], off
	v_add_co_u32_e32 v20, vcc, s4, v20
	v_mul_f64 v[0:1], v[4:5], s[2:3]
	v_mul_f64 v[2:3], v[6:7], s[2:3]
	ds_read_b128 v[4:7], v52 offset:12672
	v_addc_co_u32_e32 v21, vcc, v21, v34, vcc
	s_waitcnt vmcnt(1)
	v_mul_f64 v[8:9], v[28:29], v[14:15]
	v_mul_f64 v[10:11], v[28:29], v[12:13]
	v_fma_f64 v[8:9], v[26:27], v[12:13], v[8:9]
	v_fma_f64 v[10:11], v[26:27], v[14:15], -v[10:11]
	buffer_load_dword v26, off, s[28:31], 0 offset:184 ; 4-byte Folded Reload
	buffer_load_dword v27, off, s[28:31], 0 offset:188 ; 4-byte Folded Reload
	;; [unrolled: 1-line block ×8, first 2 shown]
	s_waitcnt vmcnt(4) lgkmcnt(1)
	v_mul_f64 v[12:13], v[28:29], v[18:19]
	v_mul_f64 v[14:15], v[28:29], v[16:17]
	s_waitcnt vmcnt(0) lgkmcnt(0)
	v_mul_f64 v[22:23], v[37:38], v[6:7]
	v_mul_f64 v[24:25], v[37:38], v[4:5]
	global_store_dwordx4 v[20:21], v[0:3], off
	s_nop 0
	v_mul_f64 v[0:1], v[8:9], s[2:3]
	v_mul_f64 v[2:3], v[10:11], s[2:3]
	v_fma_f64 v[8:9], v[26:27], v[16:17], v[12:13]
	v_fma_f64 v[10:11], v[26:27], v[18:19], -v[14:15]
	v_fma_f64 v[12:13], v[35:36], v[4:5], v[22:23]
	v_fma_f64 v[14:15], v[35:36], v[6:7], -v[24:25]
	v_add_co_u32_e32 v16, vcc, s6, v20
	v_addc_co_u32_e32 v17, vcc, v21, v30, vcc
	v_mul_f64 v[4:5], v[8:9], s[2:3]
	v_mul_f64 v[6:7], v[10:11], s[2:3]
	;; [unrolled: 1-line block ×4, first 2 shown]
	global_store_dwordx4 v[16:17], v[0:3], off
	s_nop 0
	v_add_co_u32_e32 v0, vcc, s4, v16
	v_addc_co_u32_e32 v1, vcc, v17, v34, vcc
	global_store_dwordx4 v[0:1], v[4:7], off
	v_add_co_u32_e32 v0, vcc, s4, v0
	v_addc_co_u32_e32 v1, vcc, v1, v34, vcc
	global_store_dwordx4 v[0:1], v[8:11], off
	s_and_b64 exec, exec, s[0:1]
	s_cbranch_execz .LBB0_31
; %bb.30:
	buffer_load_dword v16, off, s[28:31], 0 offset:4 ; 4-byte Folded Reload
	buffer_load_dword v17, off, s[28:31], 0 offset:8 ; 4-byte Folded Reload
	s_movk_i32 s0, 0x2000
	s_waitcnt vmcnt(1)
	v_add_co_u32_e32 v2, vcc, 0x1000, v16
	s_waitcnt vmcnt(0)
	v_addc_co_u32_e32 v3, vcc, 0, v17, vcc
	global_load_dwordx4 v[2:5], v[2:3], off offset:224
	ds_read_b128 v[6:9], v52 offset:4320
	ds_read_b128 v[10:13], v52 offset:8928
	s_waitcnt vmcnt(0) lgkmcnt(1)
	v_mul_f64 v[14:15], v[8:9], v[4:5]
	v_mul_f64 v[4:5], v[6:7], v[4:5]
	v_fma_f64 v[6:7], v[6:7], v[2:3], v[14:15]
	v_fma_f64 v[4:5], v[2:3], v[8:9], -v[4:5]
	v_mov_b32_e32 v8, s7
	v_mul_f64 v[2:3], v[6:7], s[2:3]
	v_mul_f64 v[4:5], v[4:5], s[2:3]
	v_add_co_u32_e32 v6, vcc, s6, v0
	v_addc_co_u32_e32 v7, vcc, v1, v8, vcc
	v_add_co_u32_e32 v0, vcc, s0, v16
	v_addc_co_u32_e32 v1, vcc, 0, v17, vcc
	global_store_dwordx4 v[6:7], v[2:5], off
	global_load_dwordx4 v[0:3], v[0:1], off offset:736
	s_movk_i32 s0, 0x3000
	s_waitcnt vmcnt(0) lgkmcnt(0)
	v_mul_f64 v[4:5], v[12:13], v[2:3]
	v_mul_f64 v[2:3], v[10:11], v[2:3]
	v_fma_f64 v[4:5], v[10:11], v[0:1], v[4:5]
	v_fma_f64 v[2:3], v[0:1], v[12:13], -v[2:3]
	v_mov_b32_e32 v12, s5
	v_mul_f64 v[0:1], v[4:5], s[2:3]
	v_mul_f64 v[2:3], v[2:3], s[2:3]
	v_add_co_u32_e32 v4, vcc, s0, v16
	v_addc_co_u32_e32 v5, vcc, 0, v17, vcc
	v_add_co_u32_e32 v8, vcc, s4, v6
	v_addc_co_u32_e32 v9, vcc, v7, v12, vcc
	global_store_dwordx4 v[8:9], v[0:3], off
	global_load_dwordx4 v[0:3], v[4:5], off offset:1248
	ds_read_b128 v[4:7], v52 offset:13536
	s_waitcnt vmcnt(0) lgkmcnt(0)
	v_mul_f64 v[10:11], v[6:7], v[2:3]
	v_mul_f64 v[2:3], v[4:5], v[2:3]
	v_fma_f64 v[4:5], v[4:5], v[0:1], v[10:11]
	v_fma_f64 v[2:3], v[0:1], v[6:7], -v[2:3]
	v_mul_f64 v[0:1], v[4:5], s[2:3]
	v_mul_f64 v[2:3], v[2:3], s[2:3]
	v_add_co_u32_e32 v4, vcc, s4, v8
	v_addc_co_u32_e32 v5, vcc, v9, v12, vcc
	global_store_dwordx4 v[4:5], v[0:3], off
.LBB0_31:
	s_endpgm
	.section	.rodata,"a",@progbits
	.p2align	6, 0x0
	.amdhsa_kernel bluestein_single_back_len864_dim1_dp_op_CI_CI
		.amdhsa_group_segment_fixed_size 13824
		.amdhsa_private_segment_fixed_size 368
		.amdhsa_kernarg_size 104
		.amdhsa_user_sgpr_count 6
		.amdhsa_user_sgpr_private_segment_buffer 1
		.amdhsa_user_sgpr_dispatch_ptr 0
		.amdhsa_user_sgpr_queue_ptr 0
		.amdhsa_user_sgpr_kernarg_segment_ptr 1
		.amdhsa_user_sgpr_dispatch_id 0
		.amdhsa_user_sgpr_flat_scratch_init 0
		.amdhsa_user_sgpr_private_segment_size 0
		.amdhsa_uses_dynamic_stack 0
		.amdhsa_system_sgpr_private_segment_wavefront_offset 1
		.amdhsa_system_sgpr_workgroup_id_x 1
		.amdhsa_system_sgpr_workgroup_id_y 0
		.amdhsa_system_sgpr_workgroup_id_z 0
		.amdhsa_system_sgpr_workgroup_info 0
		.amdhsa_system_vgpr_workitem_id 0
		.amdhsa_next_free_vgpr 256
		.amdhsa_next_free_sgpr 32
		.amdhsa_reserve_vcc 1
		.amdhsa_reserve_flat_scratch 0
		.amdhsa_float_round_mode_32 0
		.amdhsa_float_round_mode_16_64 0
		.amdhsa_float_denorm_mode_32 3
		.amdhsa_float_denorm_mode_16_64 3
		.amdhsa_dx10_clamp 1
		.amdhsa_ieee_mode 1
		.amdhsa_fp16_overflow 0
		.amdhsa_exception_fp_ieee_invalid_op 0
		.amdhsa_exception_fp_denorm_src 0
		.amdhsa_exception_fp_ieee_div_zero 0
		.amdhsa_exception_fp_ieee_overflow 0
		.amdhsa_exception_fp_ieee_underflow 0
		.amdhsa_exception_fp_ieee_inexact 0
		.amdhsa_exception_int_div_zero 0
	.end_amdhsa_kernel
	.text
.Lfunc_end0:
	.size	bluestein_single_back_len864_dim1_dp_op_CI_CI, .Lfunc_end0-bluestein_single_back_len864_dim1_dp_op_CI_CI
                                        ; -- End function
	.section	.AMDGPU.csdata,"",@progbits
; Kernel info:
; codeLenInByte = 20268
; NumSgprs: 36
; NumVgprs: 256
; ScratchSize: 368
; MemoryBound: 0
; FloatMode: 240
; IeeeMode: 1
; LDSByteSize: 13824 bytes/workgroup (compile time only)
; SGPRBlocks: 4
; VGPRBlocks: 63
; NumSGPRsForWavesPerEU: 36
; NumVGPRsForWavesPerEU: 256
; Occupancy: 1
; WaveLimiterHint : 1
; COMPUTE_PGM_RSRC2:SCRATCH_EN: 1
; COMPUTE_PGM_RSRC2:USER_SGPR: 6
; COMPUTE_PGM_RSRC2:TRAP_HANDLER: 0
; COMPUTE_PGM_RSRC2:TGID_X_EN: 1
; COMPUTE_PGM_RSRC2:TGID_Y_EN: 0
; COMPUTE_PGM_RSRC2:TGID_Z_EN: 0
; COMPUTE_PGM_RSRC2:TIDIG_COMP_CNT: 0
	.type	__hip_cuid_302bfac71103037,@object ; @__hip_cuid_302bfac71103037
	.section	.bss,"aw",@nobits
	.globl	__hip_cuid_302bfac71103037
__hip_cuid_302bfac71103037:
	.byte	0                               ; 0x0
	.size	__hip_cuid_302bfac71103037, 1

	.ident	"AMD clang version 19.0.0git (https://github.com/RadeonOpenCompute/llvm-project roc-6.4.0 25133 c7fe45cf4b819c5991fe208aaa96edf142730f1d)"
	.section	".note.GNU-stack","",@progbits
	.addrsig
	.addrsig_sym __hip_cuid_302bfac71103037
	.amdgpu_metadata
---
amdhsa.kernels:
  - .args:
      - .actual_access:  read_only
        .address_space:  global
        .offset:         0
        .size:           8
        .value_kind:     global_buffer
      - .actual_access:  read_only
        .address_space:  global
        .offset:         8
        .size:           8
        .value_kind:     global_buffer
      - .actual_access:  read_only
        .address_space:  global
        .offset:         16
        .size:           8
        .value_kind:     global_buffer
      - .actual_access:  read_only
        .address_space:  global
        .offset:         24
        .size:           8
        .value_kind:     global_buffer
      - .actual_access:  read_only
        .address_space:  global
        .offset:         32
        .size:           8
        .value_kind:     global_buffer
      - .offset:         40
        .size:           8
        .value_kind:     by_value
      - .address_space:  global
        .offset:         48
        .size:           8
        .value_kind:     global_buffer
      - .address_space:  global
        .offset:         56
        .size:           8
        .value_kind:     global_buffer
      - .address_space:  global
        .offset:         64
        .size:           8
        .value_kind:     global_buffer
      - .address_space:  global
        .offset:         72
        .size:           8
        .value_kind:     global_buffer
      - .offset:         80
        .size:           4
        .value_kind:     by_value
      - .address_space:  global
        .offset:         88
        .size:           8
        .value_kind:     global_buffer
      - .address_space:  global
        .offset:         96
        .size:           8
        .value_kind:     global_buffer
    .group_segment_fixed_size: 13824
    .kernarg_segment_align: 8
    .kernarg_segment_size: 104
    .language:       OpenCL C
    .language_version:
      - 2
      - 0
    .max_flat_workgroup_size: 54
    .name:           bluestein_single_back_len864_dim1_dp_op_CI_CI
    .private_segment_fixed_size: 368
    .sgpr_count:     36
    .sgpr_spill_count: 0
    .symbol:         bluestein_single_back_len864_dim1_dp_op_CI_CI.kd
    .uniform_work_group_size: 1
    .uses_dynamic_stack: false
    .vgpr_count:     256
    .vgpr_spill_count: 92
    .wavefront_size: 64
amdhsa.target:   amdgcn-amd-amdhsa--gfx906
amdhsa.version:
  - 1
  - 2
...

	.end_amdgpu_metadata
